;; amdgpu-corpus repo=zjin-lcf/HeCBench kind=compiled arch=gfx1100 opt=O3
	.text
	.amdgcn_target "amdgcn-amd-amdhsa--gfx1100"
	.amdhsa_code_object_version 6
	.protected	_Z9make_flagPcPiS_5BoxCU10outer_walliiii ; -- Begin function _Z9make_flagPcPiS_5BoxCU10outer_walliiii
	.globl	_Z9make_flagPcPiS_5BoxCU10outer_walliiii
	.p2align	8
	.type	_Z9make_flagPcPiS_5BoxCU10outer_walliiii,@function
_Z9make_flagPcPiS_5BoxCU10outer_walliiii: ; @_Z9make_flagPcPiS_5BoxCU10outer_walliiii
; %bb.0:
	s_load_b64 s[24:25], s[0:1], 0x28
	s_waitcnt lgkmcnt(0)
	s_cmp_ge_i32 s15, s25
	s_cbranch_scc1 .LBB0_103
; %bb.1:
	s_clause 0x1
	s_load_b32 s2, s[0:1], 0x64
	s_load_b128 s[8:11], s[0:1], 0x30
	s_add_u32 s26, s0, 0x58
	s_addc_u32 s27, s1, 0
	s_clause 0x3
	s_load_b128 s[20:23], s[0:1], 0x48
	s_load_b64 s[30:31], s[0:1], 0x5c
	s_load_b128 s[16:19], s[0:1], 0x0
	s_load_b64 s[38:39], s[0:1], 0x10
	v_bfe_u32 v3, v0, 10, 10
	v_dual_mov_b32 v7, 0 :: v_dual_and_b32 v0, 0x3ff, v0
	v_dual_mov_b32 v8, 4 :: v_dual_mov_b32 v9, 1
	v_dual_mov_b32 v10, 9 :: v_dual_mov_b32 v11, 3
	v_mov_b32_e32 v14, 5
	s_load_b64 s[36:37], s[0:1], 0x40
	s_waitcnt lgkmcnt(0)
	s_lshr_b32 s44, s2, 16
	s_cmp_gt_i32 s9, 6
	v_mad_u64_u32 v[1:2], null, s14, s44, v[3:4]
	s_cselect_b32 s12, -1, 0
	s_getpc_b64 s[2:3]
	s_add_u32 s2, s2, _ZL3C_p@gotpcrel32@lo+4
	s_addc_u32 s3, s3, _ZL3C_p@gotpcrel32@hi+12
	s_ashr_i32 s4, s9, 31
	s_load_b64 s[2:3], s[2:3], 0x0
	s_mul_i32 s30, s30, s44
	s_waitcnt lgkmcnt(0)
	s_add_u32 s28, s2, s9
	s_addc_u32 s29, s3, s4
	s_cmp_lg_u32 s9, 7
	s_cselect_b32 s33, -1, 0
	s_cmp_lg_u32 s9, 8
	s_cselect_b32 s66, -1, 0
	s_cmp_eq_u32 s9, 4
	s_cselect_b32 s46, -1, 0
	s_cmp_gt_i32 s8, 6
	s_cselect_b32 s47, -1, 0
	s_ashr_i32 s4, s8, 31
	s_add_u32 s34, s2, s8
	s_addc_u32 s35, s3, s4
	s_cmp_lg_u32 s8, 7
	s_load_b128 s[4:7], s[0:1], 0x18
	s_cselect_b32 s48, -1, 0
	s_cmp_lg_u32 s8, 8
	s_cselect_b32 s67, -1, 0
	s_cmp_eq_u32 s8, 4
	s_cselect_b32 s49, -1, 0
	s_add_i32 s21, s21, -1
	s_cmp_gt_i32 s11, 6
	s_cselect_b32 s50, -1, 0
	s_ashr_i32 s0, s11, 31
	s_add_u32 s40, s2, s11
	s_addc_u32 s41, s3, s0
	s_cmp_lg_u32 s11, 7
	s_cselect_b32 s51, -1, 0
	s_cmp_lg_u32 s11, 8
	s_cselect_b32 s1, -1, 0
	s_cmp_eq_u32 s11, 4
	s_cselect_b32 s52, -1, 0
	s_cmp_gt_i32 s10, 6
	s_cselect_b32 s53, -1, 0
	s_ashr_i32 s0, s10, 31
	s_add_u32 s42, s2, s10
	s_addc_u32 s43, s3, s0
	s_cmp_lg_u32 s10, 7
	s_waitcnt lgkmcnt(0)
	v_cmp_gt_i32_e64 s0, s7, v1
	s_cselect_b32 s54, -1, 0
	s_cmp_lg_u32 s10, 8
	s_cselect_b32 s69, -1, 0
	s_cmp_eq_u32 s10, 4
	s_cselect_b32 s55, -1, 0
	s_add_i32 s56, s22, -1
	s_cmp_gt_i32 s37, 6
	s_cselect_b32 s57, -1, 0
	s_ashr_i32 s23, s37, 31
	s_add_u32 s22, s2, s37
	s_addc_u32 s23, s3, s23
	s_cmp_lg_u32 s37, 7
	s_cselect_b32 s14, -1, 0
	s_cmp_lg_u32 s37, 8
	s_cselect_b32 s70, -1, 0
	s_cmp_eq_u32 s37, 4
	s_cselect_b32 s58, -1, 0
	s_cmp_gt_i32 s36, 6
	s_cselect_b32 s59, -1, 0
	s_ashr_i32 s45, s36, 31
	s_add_u32 s44, s2, s36
	s_addc_u32 s45, s3, s45
	s_cmp_lg_u32 s36, 7
	s_cselect_b32 s60, -1, 0
	s_cmp_lg_u32 s36, 8
	s_cselect_b32 s2, -1, 0
	s_cmp_eq_u32 s36, 4
	s_cselect_b32 s61, -1, 0
	s_abs_i32 s62, s7
	s_abs_i32 s63, s5
	v_cvt_f32_u32_e32 v2, s62
	v_cvt_f32_u32_e32 v3, s63
	s_abs_i32 s64, s25
	s_xor_b32 s68, s1, -1
	v_cvt_f32_u32_e32 v4, s64
	v_rcp_iflag_f32_e32 v2, v2
	v_rcp_iflag_f32_e32 v3, v3
	v_mov_b32_e32 v12, 2
	s_sub_i32 s1, 0, s62
	v_rcp_iflag_f32_e32 v4, v4
	s_not_b32 s3, s4
	s_sub_i32 s65, 0, s4
	s_sub_i32 s4, 0, s64
	s_add_i32 s20, s3, s20
	s_xor_b32 s66, s66, -1
	s_waitcnt_depctr 0xfff
	v_dual_mul_f32 v2, 0x4f7ffffe, v2 :: v_dual_mul_f32 v3, 0x4f7ffffe, v3
	s_add_i32 s3, s5, s20
	s_xor_b32 s67, s67, -1
	s_xor_b32 s69, s69, -1
	s_delay_alu instid0(VALU_DEP_1)
	v_cvt_u32_f32_e32 v2, v2
	v_cvt_u32_f32_e32 v3, v3
	s_xor_b32 s70, s70, -1
	s_xor_b32 s73, s2, -1
	s_ashr_i32 s74, s3, 31
	v_mul_lo_u32 v5, s1, v2
	v_readfirstlane_b32 s71, v3
	s_sub_i32 s1, 0, s63
	s_abs_i32 s75, s3
	s_delay_alu instid0(VALU_DEP_1) | instskip(NEXT) | instid1(VALU_DEP_2)
	s_mul_i32 s1, s1, s71
	v_mul_hi_u32 v3, v2, v5
	v_mul_f32_e32 v4, 0x4f7ffffe, v4
	s_mul_hi_u32 s1, s71, s1
	s_delay_alu instid0(SALU_CYCLE_1) | instskip(NEXT) | instid1(VALU_DEP_2)
	s_add_i32 s71, s71, s1
	v_add_nc_u32_e32 v13, v2, v3
	s_delay_alu instid0(VALU_DEP_2) | instskip(NEXT) | instid1(VALU_DEP_1)
	v_cvt_u32_f32_e32 v4, v4
	v_readfirstlane_b32 s72, v4
	s_delay_alu instid0(VALU_DEP_1) | instskip(NEXT) | instid1(SALU_CYCLE_1)
	s_mul_i32 s4, s4, s72
	s_mul_hi_u32 s4, s72, s4
	s_delay_alu instid0(SALU_CYCLE_1)
	s_add_i32 s72, s72, s4
	s_branch .LBB0_3
.LBB0_2:                                ;   in Loop: Header=BB0_3 Depth=1
	s_or_b32 exec_lo, exec_lo, s76
	s_add_i32 s15, s31, s15
	s_delay_alu instid0(SALU_CYCLE_1)
	s_cmp_ge_i32 s15, s25
	s_cbranch_scc1 .LBB0_103
.LBB0_3:                                ; =>This Loop Header: Depth=1
                                        ;     Child Loop BB0_6 Depth 2
                                        ;       Child Loop BB0_10 Depth 3
	s_and_saveexec_b32 s76, s0
	s_cbranch_execz .LBB0_2
; %bb.4:                                ;   in Loop: Header=BB0_3 Depth=1
	s_clause 0x1
	s_load_b32 s1, s[26:27], 0xc
	s_load_b32 s80, s[26:27], 0x0
	s_add_i32 s3, s15, s24
	s_add_i32 s2, s15, s25
	v_mov_b32_e32 v15, v1
	s_waitcnt lgkmcnt(0)
	s_and_b32 s4, s1, 0xffff
	s_cmp_lg_u32 s3, 0
	v_mad_u64_u32 v[2:3], null, s13, s4, v[0:1]
	s_cselect_b32 s77, -1, 0
	s_cmp_eq_u32 s3, s56
	s_mul_i32 s80, s80, s4
	s_cselect_b32 s78, -1, 0
	s_abs_i32 s1, s2
	s_ashr_i32 s2, s2, 31
	s_mul_hi_u32 s3, s1, s72
	s_delay_alu instid0(SALU_CYCLE_1) | instskip(NEXT) | instid1(SALU_CYCLE_1)
	s_mul_i32 s3, s3, s64
	s_sub_i32 s1, s1, s3
	s_delay_alu instid0(SALU_CYCLE_1)
	s_sub_i32 s3, s1, s64
	s_cmp_ge_u32 s1, s64
	s_cselect_b32 s3, s3, s1
	v_cmp_gt_i32_e64 s1, s5, v2
	s_sub_i32 s79, s3, s64
	s_cmp_ge_u32 s3, s64
	s_cselect_b32 s3, s79, s3
	s_mov_b32 s79, 0
	s_xor_b32 s3, s3, s2
	s_delay_alu instid0(SALU_CYCLE_1) | instskip(NEXT) | instid1(SALU_CYCLE_1)
	s_sub_i32 s81, s3, s2
	s_mul_i32 s81, s81, s7
	s_branch .LBB0_6
.LBB0_5:                                ;   in Loop: Header=BB0_6 Depth=2
	s_or_b32 exec_lo, exec_lo, s82
	v_add_nc_u32_e32 v15, s30, v15
	s_delay_alu instid0(VALU_DEP_1) | instskip(SKIP_1) | instid1(SALU_CYCLE_1)
	v_cmp_le_i32_e32 vcc_lo, s7, v15
	s_or_b32 s79, vcc_lo, s79
	s_and_not1_b32 exec_lo, exec_lo, s79
	s_cbranch_execz .LBB0_2
.LBB0_6:                                ;   Parent Loop BB0_3 Depth=1
                                        ; =>  This Loop Header: Depth=2
                                        ;       Child Loop BB0_10 Depth 3
	s_and_saveexec_b32 s82, s1
	s_cbranch_execz .LBB0_5
; %bb.7:                                ;   in Loop: Header=BB0_6 Depth=2
	v_add_nc_u32_e32 v3, s7, v15
	s_mov_b32 s83, 0
	v_mov_b32_e32 v17, v2
	s_delay_alu instid0(VALU_DEP_2) | instskip(NEXT) | instid1(VALU_DEP_1)
	v_sub_nc_u32_e32 v4, 0, v3
	v_max_i32_e32 v4, v3, v4
	s_delay_alu instid0(VALU_DEP_1) | instskip(NEXT) | instid1(VALU_DEP_1)
	v_mul_hi_u32 v5, v4, v13
	v_mul_lo_u32 v5, v5, s62
	s_delay_alu instid0(VALU_DEP_1) | instskip(NEXT) | instid1(VALU_DEP_1)
	v_sub_nc_u32_e32 v4, v4, v5
	v_subrev_nc_u32_e32 v5, s62, v4
	v_cmp_le_u32_e32 vcc_lo, s62, v4
	s_delay_alu instid0(VALU_DEP_2) | instskip(SKIP_1) | instid1(VALU_DEP_2)
	v_cndmask_b32_e32 v4, v4, v5, vcc_lo
	v_ashrrev_i32_e32 v3, 31, v3
	v_subrev_nc_u32_e32 v5, s62, v4
	v_cmp_le_u32_e32 vcc_lo, s62, v4
	s_delay_alu instid0(VALU_DEP_2) | instskip(NEXT) | instid1(VALU_DEP_1)
	v_cndmask_b32_e32 v4, v4, v5, vcc_lo
	v_xor_b32_e32 v4, v4, v3
	s_delay_alu instid0(VALU_DEP_1) | instskip(SKIP_1) | instid1(VALU_DEP_2)
	v_sub_nc_u32_e32 v3, v4, v3
	v_add_nc_u32_e32 v4, s6, v15
	v_add_nc_u32_e32 v3, s81, v3
	s_delay_alu instid0(VALU_DEP_2) | instskip(SKIP_1) | instid1(VALU_DEP_3)
	v_cmp_ne_u32_e64 s2, 0, v4
	v_cmp_eq_u32_e64 s3, s21, v4
	v_mul_lo_u32 v16, v3, s5
	s_branch .LBB0_10
.LBB0_8:                                ;   in Loop: Header=BB0_10 Depth=3
	s_or_b32 exec_lo, exec_lo, s4
.LBB0_9:                                ;   in Loop: Header=BB0_10 Depth=3
	v_add_nc_u32_e32 v17, s80, v17
	s_delay_alu instid0(VALU_DEP_1) | instskip(SKIP_1) | instid1(SALU_CYCLE_1)
	v_cmp_le_i32_e32 vcc_lo, s5, v17
	s_or_b32 s83, vcc_lo, s83
	s_and_not1_b32 exec_lo, exec_lo, s83
	s_cbranch_execz .LBB0_5
.LBB0_10:                               ;   Parent Loop BB0_3 Depth=1
                                        ;     Parent Loop BB0_6 Depth=2
                                        ; =>    This Inner Loop Header: Depth=3
	s_mov_b32 s4, exec_lo
	v_cmpx_ne_u32_e64 s65, v17
	s_xor_b32 s84, exec_lo, s4
	s_cbranch_execnz .LBB0_13
; %bb.11:                               ;   in Loop: Header=BB0_10 Depth=3
	s_and_not1_saveexec_b32 s84, s84
	s_cbranch_execnz .LBB0_28
.LBB0_12:                               ;   in Loop: Header=BB0_10 Depth=3
	s_or_b32 exec_lo, exec_lo, s84
	s_and_saveexec_b32 s4, s2
	s_delay_alu instid0(SALU_CYCLE_1)
	s_xor_b32 s84, exec_lo, s4
	s_cbranch_execnz .LBB0_42
	s_branch .LBB0_57
.LBB0_13:                               ;   in Loop: Header=BB0_10 Depth=3
	s_mov_b32 s85, exec_lo
	v_cmpx_eq_u32_e64 s20, v17
	s_cbranch_execz .LBB0_27
; %bb.14:                               ;   in Loop: Header=BB0_10 Depth=3
	s_mul_hi_u32 s4, s75, s71
	s_delay_alu instid0(SALU_CYCLE_1) | instskip(NEXT) | instid1(SALU_CYCLE_1)
	s_mul_i32 s4, s4, s63
	s_sub_i32 s4, s75, s4
	s_delay_alu instid0(SALU_CYCLE_1) | instskip(SKIP_2) | instid1(SALU_CYCLE_1)
	s_sub_i32 s86, s4, s63
	s_cmp_ge_u32 s4, s63
	s_cselect_b32 s4, s86, s4
	s_sub_i32 s86, s4, s63
	s_cmp_ge_u32 s4, s63
	s_cselect_b32 s4, s86, s4
	s_and_not1_b32 vcc_lo, exec_lo, s12
	s_xor_b32 s4, s4, s74
	s_delay_alu instid0(SALU_CYCLE_1) | instskip(NEXT) | instid1(SALU_CYCLE_1)
	s_sub_i32 s4, s4, s74
	v_add_nc_u32_e32 v5, s4, v16
	s_delay_alu instid0(VALU_DEP_1)
	v_ashrrev_i32_e32 v6, 31, v5
	s_cbranch_vccnz .LBB0_16
; %bb.15:                               ;   in Loop: Header=BB0_10 Depth=3
	v_add_co_u32 v3, vcc_lo, s38, v5
	s_delay_alu instid0(VALU_DEP_2)
	v_add_co_ci_u32_e32 v4, vcc_lo, s39, v6, vcc_lo
	global_store_b8 v[3:4], v9, off
.LBB0_16:                               ;   in Loop: Header=BB0_10 Depth=3
	v_add_co_u32 v3, vcc_lo, s16, v5
	s_delay_alu instid0(VALU_DEP_2)
	v_add_co_ci_u32_e32 v4, vcc_lo, s17, v6, vcc_lo
	s_getpc_b64 s[86:87]
	s_add_u32 s86, s86, _ZL3C_p@gotpcrel32@lo+4
	s_addc_u32 s87, s87, _ZL3C_p@gotpcrel32@hi+12
	s_mov_b32 s4, exec_lo
	s_load_b64 s[86:87], s[86:87], 0x0
	global_load_u8 v18, v[3:4], off
	s_waitcnt vmcnt(0)
	v_bfe_i32 v19, v18, 0, 8
	s_delay_alu instid0(VALU_DEP_1) | instskip(SKIP_2) | instid1(VALU_DEP_2)
	v_ashrrev_i32_e32 v20, 31, v19
	s_waitcnt lgkmcnt(0)
	v_add_co_u32 v19, vcc_lo, s86, v19
	v_add_co_ci_u32_e32 v20, vcc_lo, s87, v20, vcc_lo
	s_clause 0x1
	global_load_i8 v19, v[19:20], off
	global_load_i8 v20, v7, s[28:29]
	s_waitcnt vmcnt(0)
	v_cmpx_ge_i16_e64 v19, v20
	s_xor_b32 s86, exec_lo, s4
	s_cbranch_execz .LBB0_24
; %bb.17:                               ;   in Loop: Header=BB0_10 Depth=3
	v_and_b32_e32 v5, 0xff, v18
	s_and_not1_b32 vcc_lo, exec_lo, s33
	s_delay_alu instid0(VALU_DEP_1)
	v_cmp_ne_u16_e64 s4, 4, v5
	s_cbranch_vccnz .LBB0_19
; %bb.18:                               ;   in Loop: Header=BB0_10 Depth=3
	v_add_nc_u16 v6, v18, -9
	s_delay_alu instid0(VALU_DEP_1) | instskip(NEXT) | instid1(VALU_DEP_1)
	v_and_b32_e32 v6, 0xff, v6
	v_cmp_lt_u16_e32 vcc_lo, 0xfd, v6
	s_or_b32 s87, s66, vcc_lo
	s_delay_alu instid0(SALU_CYCLE_1) | instskip(NEXT) | instid1(SALU_CYCLE_1)
	s_and_b32 s4, s4, s87
	s_and_b32 s4, s4, exec_lo
	s_cbranch_execz .LBB0_20
	s_branch .LBB0_21
.LBB0_19:                               ;   in Loop: Header=BB0_10 Depth=3
	s_mov_b32 s4, 0
.LBB0_20:                               ;   in Loop: Header=BB0_10 Depth=3
	v_cmp_ne_u16_e32 vcc_lo, 4, v5
	s_and_not1_b32 s4, s4, exec_lo
	s_and_b32 s87, vcc_lo, exec_lo
	s_delay_alu instid0(SALU_CYCLE_1)
	s_or_b32 s4, s4, s87
.LBB0_21:                               ;   in Loop: Header=BB0_10 Depth=3
	s_delay_alu instid0(SALU_CYCLE_1)
	s_and_saveexec_b32 s87, s4
	s_cbranch_execz .LBB0_23
; %bb.22:                               ;   in Loop: Header=BB0_10 Depth=3
	global_store_b8 v[3:4], v10, off
.LBB0_23:                               ;   in Loop: Header=BB0_10 Depth=3
	s_or_b32 exec_lo, exec_lo, s87
                                        ; implicit-def: $vgpr3_vgpr4
                                        ; implicit-def: $vgpr5_vgpr6
.LBB0_24:                               ;   in Loop: Header=BB0_10 Depth=3
	s_and_not1_saveexec_b32 s4, s86
	s_cbranch_execz .LBB0_27
; %bb.25:                               ;   in Loop: Header=BB0_10 Depth=3
	v_mov_b32_e32 v18, s9
	s_and_not1_b32 vcc_lo, exec_lo, s46
	global_store_b8 v[3:4], v18, off
	s_cbranch_vccnz .LBB0_27
; %bb.26:                               ;   in Loop: Header=BB0_10 Depth=3
	v_lshlrev_b64 v[3:4], 2, v[5:6]
	s_delay_alu instid0(VALU_DEP_1) | instskip(NEXT) | instid1(VALU_DEP_2)
	v_add_co_u32 v3, vcc_lo, s18, v3
	v_add_co_ci_u32_e32 v4, vcc_lo, s19, v4, vcc_lo
	global_store_b32 v[3:4], v8, off
.LBB0_27:                               ;   in Loop: Header=BB0_10 Depth=3
	s_or_b32 exec_lo, exec_lo, s85
	s_and_not1_saveexec_b32 s84, s84
	s_cbranch_execz .LBB0_12
.LBB0_28:                               ;   in Loop: Header=BB0_10 Depth=3
	s_add_i32 s4, s5, s65
	s_delay_alu instid0(SALU_CYCLE_1) | instskip(SKIP_2) | instid1(SALU_CYCLE_1)
	s_abs_i32 s85, s4
	s_ashr_i32 s4, s4, 31
	s_mul_hi_u32 s86, s85, s71
	s_mul_i32 s86, s86, s63
	s_delay_alu instid0(SALU_CYCLE_1) | instskip(NEXT) | instid1(SALU_CYCLE_1)
	s_sub_i32 s85, s85, s86
	s_sub_i32 s86, s85, s63
	s_cmp_ge_u32 s85, s63
	s_cselect_b32 s85, s86, s85
	s_delay_alu instid0(SALU_CYCLE_1) | instskip(SKIP_4) | instid1(SALU_CYCLE_1)
	s_sub_i32 s86, s85, s63
	s_cmp_ge_u32 s85, s63
	s_cselect_b32 s85, s86, s85
	s_and_not1_b32 vcc_lo, exec_lo, s47
	s_xor_b32 s85, s85, s4
	s_sub_i32 s4, s85, s4
	s_delay_alu instid0(SALU_CYCLE_1) | instskip(NEXT) | instid1(VALU_DEP_1)
	v_add_nc_u32_e32 v5, s4, v16
	v_ashrrev_i32_e32 v6, 31, v5
	s_cbranch_vccnz .LBB0_30
; %bb.29:                               ;   in Loop: Header=BB0_10 Depth=3
	v_add_co_u32 v3, vcc_lo, s38, v5
	s_delay_alu instid0(VALU_DEP_2)
	v_add_co_ci_u32_e32 v4, vcc_lo, s39, v6, vcc_lo
	global_store_b8 v[3:4], v7, off
.LBB0_30:                               ;   in Loop: Header=BB0_10 Depth=3
	v_add_co_u32 v3, vcc_lo, s16, v5
	s_delay_alu instid0(VALU_DEP_2)
	v_add_co_ci_u32_e32 v4, vcc_lo, s17, v6, vcc_lo
	s_getpc_b64 s[86:87]
	s_add_u32 s86, s86, _ZL3C_p@gotpcrel32@lo+4
	s_addc_u32 s87, s87, _ZL3C_p@gotpcrel32@hi+12
	s_mov_b32 s4, exec_lo
	s_load_b64 s[86:87], s[86:87], 0x0
	global_load_u8 v18, v[3:4], off
	s_waitcnt vmcnt(0)
	v_bfe_i32 v19, v18, 0, 8
	s_delay_alu instid0(VALU_DEP_1) | instskip(SKIP_2) | instid1(VALU_DEP_2)
	v_ashrrev_i32_e32 v20, 31, v19
	s_waitcnt lgkmcnt(0)
	v_add_co_u32 v19, vcc_lo, s86, v19
	v_add_co_ci_u32_e32 v20, vcc_lo, s87, v20, vcc_lo
	s_clause 0x1
	global_load_i8 v19, v[19:20], off
	global_load_i8 v20, v7, s[34:35]
	s_waitcnt vmcnt(0)
	v_cmpx_ge_i16_e64 v19, v20
	s_xor_b32 s85, exec_lo, s4
	s_cbranch_execz .LBB0_38
; %bb.31:                               ;   in Loop: Header=BB0_10 Depth=3
	v_and_b32_e32 v5, 0xff, v18
	s_and_not1_b32 vcc_lo, exec_lo, s48
	s_delay_alu instid0(VALU_DEP_1)
	v_cmp_ne_u16_e64 s4, 4, v5
	s_cbranch_vccnz .LBB0_33
; %bb.32:                               ;   in Loop: Header=BB0_10 Depth=3
	v_add_nc_u16 v6, v18, -9
	s_delay_alu instid0(VALU_DEP_1) | instskip(NEXT) | instid1(VALU_DEP_1)
	v_and_b32_e32 v6, 0xff, v6
	v_cmp_lt_u16_e32 vcc_lo, 0xfd, v6
	s_or_b32 s86, s67, vcc_lo
	s_delay_alu instid0(SALU_CYCLE_1) | instskip(NEXT) | instid1(SALU_CYCLE_1)
	s_and_b32 s4, s4, s86
	s_and_b32 s4, s4, exec_lo
	s_cbranch_execz .LBB0_34
	s_branch .LBB0_35
.LBB0_33:                               ;   in Loop: Header=BB0_10 Depth=3
	s_mov_b32 s4, 0
.LBB0_34:                               ;   in Loop: Header=BB0_10 Depth=3
	v_cmp_ne_u16_e32 vcc_lo, 4, v5
	s_and_not1_b32 s4, s4, exec_lo
	s_and_b32 s86, vcc_lo, exec_lo
	s_delay_alu instid0(SALU_CYCLE_1)
	s_or_b32 s4, s4, s86
.LBB0_35:                               ;   in Loop: Header=BB0_10 Depth=3
	s_delay_alu instid0(SALU_CYCLE_1)
	s_and_saveexec_b32 s86, s4
	s_cbranch_execz .LBB0_37
; %bb.36:                               ;   in Loop: Header=BB0_10 Depth=3
	global_store_b8 v[3:4], v10, off
.LBB0_37:                               ;   in Loop: Header=BB0_10 Depth=3
	s_or_b32 exec_lo, exec_lo, s86
                                        ; implicit-def: $vgpr3_vgpr4
                                        ; implicit-def: $vgpr5_vgpr6
.LBB0_38:                               ;   in Loop: Header=BB0_10 Depth=3
	s_and_not1_saveexec_b32 s4, s85
	s_cbranch_execz .LBB0_41
; %bb.39:                               ;   in Loop: Header=BB0_10 Depth=3
	v_mov_b32_e32 v18, s8
	s_and_not1_b32 vcc_lo, exec_lo, s49
	global_store_b8 v[3:4], v18, off
	s_cbranch_vccnz .LBB0_41
; %bb.40:                               ;   in Loop: Header=BB0_10 Depth=3
	v_lshlrev_b64 v[3:4], 2, v[5:6]
	s_delay_alu instid0(VALU_DEP_1) | instskip(NEXT) | instid1(VALU_DEP_2)
	v_add_co_u32 v3, vcc_lo, s18, v3
	v_add_co_ci_u32_e32 v4, vcc_lo, s19, v4, vcc_lo
	global_store_b32 v[3:4], v8, off
.LBB0_41:                               ;   in Loop: Header=BB0_10 Depth=3
	s_or_b32 exec_lo, exec_lo, s4
	s_delay_alu instid0(SALU_CYCLE_1) | instskip(SKIP_1) | instid1(SALU_CYCLE_1)
	s_or_b32 exec_lo, exec_lo, s84
	s_and_saveexec_b32 s4, s2
	s_xor_b32 s84, exec_lo, s4
	s_cbranch_execz .LBB0_57
.LBB0_42:                               ;   in Loop: Header=BB0_10 Depth=3
	s_and_saveexec_b32 s85, s3
	s_cbranch_execz .LBB0_56
; %bb.43:                               ;   in Loop: Header=BB0_10 Depth=3
	v_add_nc_u32_e32 v3, s5, v17
	s_delay_alu instid0(VALU_DEP_1) | instskip(NEXT) | instid1(VALU_DEP_1)
	v_sub_nc_u32_e32 v4, 0, v3
	v_max_i32_e32 v4, v3, v4
	v_ashrrev_i32_e32 v3, 31, v3
	s_delay_alu instid0(VALU_DEP_2) | instskip(NEXT) | instid1(VALU_DEP_1)
	v_mul_hi_u32 v5, v4, s71
	v_mul_lo_u32 v5, v5, s63
	s_delay_alu instid0(VALU_DEP_1) | instskip(NEXT) | instid1(VALU_DEP_1)
	v_sub_nc_u32_e32 v4, v4, v5
	v_subrev_nc_u32_e32 v5, s63, v4
	v_cmp_le_u32_e32 vcc_lo, s63, v4
	s_delay_alu instid0(VALU_DEP_2) | instskip(NEXT) | instid1(VALU_DEP_1)
	v_cndmask_b32_e32 v4, v4, v5, vcc_lo
	v_subrev_nc_u32_e32 v5, s63, v4
	v_cmp_le_u32_e32 vcc_lo, s63, v4
	s_delay_alu instid0(VALU_DEP_2) | instskip(SKIP_1) | instid1(VALU_DEP_1)
	v_cndmask_b32_e32 v4, v4, v5, vcc_lo
	s_and_not1_b32 vcc_lo, exec_lo, s50
	v_xor_b32_e32 v4, v4, v3
	s_delay_alu instid0(VALU_DEP_1) | instskip(NEXT) | instid1(VALU_DEP_1)
	v_sub_nc_u32_e32 v3, v4, v3
	v_add_nc_u32_e32 v5, v16, v3
	s_delay_alu instid0(VALU_DEP_1)
	v_ashrrev_i32_e32 v6, 31, v5
	s_cbranch_vccnz .LBB0_45
; %bb.44:                               ;   in Loop: Header=BB0_10 Depth=3
	v_add_co_u32 v3, vcc_lo, s38, v5
	s_delay_alu instid0(VALU_DEP_2)
	v_add_co_ci_u32_e32 v4, vcc_lo, s39, v6, vcc_lo
	global_store_b8 v[3:4], v11, off
.LBB0_45:                               ;   in Loop: Header=BB0_10 Depth=3
	v_add_co_u32 v3, vcc_lo, s16, v5
	s_delay_alu instid0(VALU_DEP_2)
	v_add_co_ci_u32_e32 v4, vcc_lo, s17, v6, vcc_lo
	s_getpc_b64 s[86:87]
	s_add_u32 s86, s86, _ZL3C_p@gotpcrel32@lo+4
	s_addc_u32 s87, s87, _ZL3C_p@gotpcrel32@hi+12
	s_mov_b32 s4, exec_lo
	s_load_b64 s[86:87], s[86:87], 0x0
	global_load_u8 v18, v[3:4], off
	s_waitcnt vmcnt(0)
	v_bfe_i32 v19, v18, 0, 8
	s_delay_alu instid0(VALU_DEP_1) | instskip(SKIP_2) | instid1(VALU_DEP_2)
	v_ashrrev_i32_e32 v20, 31, v19
	s_waitcnt lgkmcnt(0)
	v_add_co_u32 v19, vcc_lo, s86, v19
	v_add_co_ci_u32_e32 v20, vcc_lo, s87, v20, vcc_lo
	s_clause 0x1
	global_load_i8 v19, v[19:20], off
	global_load_i8 v20, v7, s[40:41]
	s_waitcnt vmcnt(0)
	v_cmpx_ge_i16_e64 v19, v20
	s_xor_b32 s86, exec_lo, s4
	s_cbranch_execz .LBB0_53
; %bb.46:                               ;   in Loop: Header=BB0_10 Depth=3
	v_and_b32_e32 v5, 0xff, v18
	s_and_not1_b32 vcc_lo, exec_lo, s51
	s_delay_alu instid0(VALU_DEP_1)
	v_cmp_ne_u16_e64 s4, 4, v5
	s_cbranch_vccnz .LBB0_48
; %bb.47:                               ;   in Loop: Header=BB0_10 Depth=3
	v_add_nc_u16 v6, v18, -9
	s_delay_alu instid0(VALU_DEP_1) | instskip(NEXT) | instid1(VALU_DEP_1)
	v_and_b32_e32 v6, 0xff, v6
	v_cmp_lt_u16_e32 vcc_lo, 0xfd, v6
	s_or_b32 s87, s68, vcc_lo
	s_delay_alu instid0(SALU_CYCLE_1) | instskip(NEXT) | instid1(SALU_CYCLE_1)
	s_and_b32 s4, s4, s87
	s_and_b32 s4, s4, exec_lo
	s_cbranch_execz .LBB0_49
	s_branch .LBB0_50
.LBB0_48:                               ;   in Loop: Header=BB0_10 Depth=3
	s_mov_b32 s4, 0
.LBB0_49:                               ;   in Loop: Header=BB0_10 Depth=3
	v_cmp_ne_u16_e32 vcc_lo, 4, v5
	s_and_not1_b32 s4, s4, exec_lo
	s_and_b32 s87, vcc_lo, exec_lo
	s_delay_alu instid0(SALU_CYCLE_1)
	s_or_b32 s4, s4, s87
.LBB0_50:                               ;   in Loop: Header=BB0_10 Depth=3
	s_delay_alu instid0(SALU_CYCLE_1)
	s_and_saveexec_b32 s87, s4
	s_cbranch_execz .LBB0_52
; %bb.51:                               ;   in Loop: Header=BB0_10 Depth=3
	global_store_b8 v[3:4], v10, off
.LBB0_52:                               ;   in Loop: Header=BB0_10 Depth=3
	s_or_b32 exec_lo, exec_lo, s87
                                        ; implicit-def: $vgpr3_vgpr4
                                        ; implicit-def: $vgpr5_vgpr6
.LBB0_53:                               ;   in Loop: Header=BB0_10 Depth=3
	s_and_not1_saveexec_b32 s4, s86
	s_cbranch_execz .LBB0_56
; %bb.54:                               ;   in Loop: Header=BB0_10 Depth=3
	v_mov_b32_e32 v18, s11
	s_and_not1_b32 vcc_lo, exec_lo, s52
	global_store_b8 v[3:4], v18, off
	s_cbranch_vccnz .LBB0_56
; %bb.55:                               ;   in Loop: Header=BB0_10 Depth=3
	v_lshlrev_b64 v[3:4], 2, v[5:6]
	s_delay_alu instid0(VALU_DEP_1) | instskip(NEXT) | instid1(VALU_DEP_2)
	v_add_co_u32 v3, vcc_lo, s18, v3
	v_add_co_ci_u32_e32 v4, vcc_lo, s19, v4, vcc_lo
	global_store_b32 v[3:4], v8, off
.LBB0_56:                               ;   in Loop: Header=BB0_10 Depth=3
	s_or_b32 exec_lo, exec_lo, s85
.LBB0_57:                               ;   in Loop: Header=BB0_10 Depth=3
	s_or_saveexec_b32 s84, s84
	v_add_nc_u32_e32 v19, s5, v17
	s_delay_alu instid0(VALU_DEP_1)
	v_ashrrev_i32_e32 v18, 31, v19
	v_sub_nc_u32_e32 v20, 0, v19
	s_xor_b32 exec_lo, exec_lo, s84
	s_cbranch_execz .LBB0_72
; %bb.58:                               ;   in Loop: Header=BB0_10 Depth=3
	s_delay_alu instid0(VALU_DEP_1) | instskip(NEXT) | instid1(VALU_DEP_1)
	v_max_i32_e32 v3, v19, v20
	v_mul_hi_u32 v4, v3, s71
	s_delay_alu instid0(VALU_DEP_1) | instskip(NEXT) | instid1(VALU_DEP_1)
	v_mul_lo_u32 v4, v4, s63
	v_sub_nc_u32_e32 v3, v3, v4
	s_delay_alu instid0(VALU_DEP_1) | instskip(SKIP_1) | instid1(VALU_DEP_2)
	v_subrev_nc_u32_e32 v4, s63, v3
	v_cmp_le_u32_e32 vcc_lo, s63, v3
	v_cndmask_b32_e32 v3, v3, v4, vcc_lo
	s_delay_alu instid0(VALU_DEP_1) | instskip(SKIP_1) | instid1(VALU_DEP_2)
	v_subrev_nc_u32_e32 v4, s63, v3
	v_cmp_le_u32_e32 vcc_lo, s63, v3
	v_cndmask_b32_e32 v3, v3, v4, vcc_lo
	s_and_not1_b32 vcc_lo, exec_lo, s53
	s_delay_alu instid0(VALU_DEP_1) | instskip(NEXT) | instid1(VALU_DEP_1)
	v_xor_b32_e32 v3, v3, v18
	v_sub_nc_u32_e32 v3, v3, v18
	s_delay_alu instid0(VALU_DEP_1) | instskip(NEXT) | instid1(VALU_DEP_1)
	v_add_nc_u32_e32 v5, v16, v3
	v_ashrrev_i32_e32 v6, 31, v5
	s_cbranch_vccnz .LBB0_60
; %bb.59:                               ;   in Loop: Header=BB0_10 Depth=3
	v_add_co_u32 v3, vcc_lo, s38, v5
	s_delay_alu instid0(VALU_DEP_2)
	v_add_co_ci_u32_e32 v4, vcc_lo, s39, v6, vcc_lo
	global_store_b8 v[3:4], v12, off
.LBB0_60:                               ;   in Loop: Header=BB0_10 Depth=3
	v_add_co_u32 v3, vcc_lo, s16, v5
	s_delay_alu instid0(VALU_DEP_2)
	v_add_co_ci_u32_e32 v4, vcc_lo, s17, v6, vcc_lo
	s_getpc_b64 s[86:87]
	s_add_u32 s86, s86, _ZL3C_p@gotpcrel32@lo+4
	s_addc_u32 s87, s87, _ZL3C_p@gotpcrel32@hi+12
	s_mov_b32 s4, exec_lo
	s_load_b64 s[86:87], s[86:87], 0x0
	global_load_u8 v21, v[3:4], off
	s_waitcnt vmcnt(0)
	v_bfe_i32 v22, v21, 0, 8
	s_delay_alu instid0(VALU_DEP_1) | instskip(SKIP_2) | instid1(VALU_DEP_2)
	v_ashrrev_i32_e32 v23, 31, v22
	s_waitcnt lgkmcnt(0)
	v_add_co_u32 v22, vcc_lo, s86, v22
	v_add_co_ci_u32_e32 v23, vcc_lo, s87, v23, vcc_lo
	s_clause 0x1
	global_load_i8 v22, v[22:23], off
	global_load_i8 v23, v7, s[42:43]
	s_waitcnt vmcnt(0)
	v_cmpx_ge_i16_e64 v22, v23
	s_xor_b32 s85, exec_lo, s4
	s_cbranch_execz .LBB0_68
; %bb.61:                               ;   in Loop: Header=BB0_10 Depth=3
	v_and_b32_e32 v5, 0xff, v21
	s_and_not1_b32 vcc_lo, exec_lo, s54
	s_delay_alu instid0(VALU_DEP_1)
	v_cmp_ne_u16_e64 s4, 4, v5
	s_cbranch_vccnz .LBB0_63
; %bb.62:                               ;   in Loop: Header=BB0_10 Depth=3
	v_add_nc_u16 v6, v21, -9
	s_delay_alu instid0(VALU_DEP_1) | instskip(NEXT) | instid1(VALU_DEP_1)
	v_and_b32_e32 v6, 0xff, v6
	v_cmp_lt_u16_e32 vcc_lo, 0xfd, v6
	s_or_b32 s86, s69, vcc_lo
	s_delay_alu instid0(SALU_CYCLE_1) | instskip(NEXT) | instid1(SALU_CYCLE_1)
	s_and_b32 s4, s4, s86
	s_and_b32 s4, s4, exec_lo
	s_cbranch_execz .LBB0_64
	s_branch .LBB0_65
.LBB0_63:                               ;   in Loop: Header=BB0_10 Depth=3
	s_mov_b32 s4, 0
.LBB0_64:                               ;   in Loop: Header=BB0_10 Depth=3
	v_cmp_ne_u16_e32 vcc_lo, 4, v5
	s_and_not1_b32 s4, s4, exec_lo
	s_and_b32 s86, vcc_lo, exec_lo
	s_delay_alu instid0(SALU_CYCLE_1)
	s_or_b32 s4, s4, s86
.LBB0_65:                               ;   in Loop: Header=BB0_10 Depth=3
	s_delay_alu instid0(SALU_CYCLE_1)
	s_and_saveexec_b32 s86, s4
	s_cbranch_execz .LBB0_67
; %bb.66:                               ;   in Loop: Header=BB0_10 Depth=3
	global_store_b8 v[3:4], v10, off
.LBB0_67:                               ;   in Loop: Header=BB0_10 Depth=3
	s_or_b32 exec_lo, exec_lo, s86
                                        ; implicit-def: $vgpr3_vgpr4
                                        ; implicit-def: $vgpr5_vgpr6
.LBB0_68:                               ;   in Loop: Header=BB0_10 Depth=3
	s_and_not1_saveexec_b32 s4, s85
	s_cbranch_execz .LBB0_71
; %bb.69:                               ;   in Loop: Header=BB0_10 Depth=3
	v_mov_b32_e32 v21, s10
	s_and_not1_b32 vcc_lo, exec_lo, s55
	global_store_b8 v[3:4], v21, off
	s_cbranch_vccnz .LBB0_71
; %bb.70:                               ;   in Loop: Header=BB0_10 Depth=3
	v_lshlrev_b64 v[3:4], 2, v[5:6]
	s_delay_alu instid0(VALU_DEP_1) | instskip(NEXT) | instid1(VALU_DEP_2)
	v_add_co_u32 v3, vcc_lo, s18, v3
	v_add_co_ci_u32_e32 v4, vcc_lo, s19, v4, vcc_lo
	global_store_b32 v[3:4], v8, off
.LBB0_71:                               ;   in Loop: Header=BB0_10 Depth=3
	s_or_b32 exec_lo, exec_lo, s4
.LBB0_72:                               ;   in Loop: Header=BB0_10 Depth=3
	s_delay_alu instid0(SALU_CYCLE_1) | instskip(NEXT) | instid1(SALU_CYCLE_1)
	s_or_b32 exec_lo, exec_lo, s84
	s_and_b32 vcc_lo, exec_lo, s77
	s_cbranch_vccz .LBB0_79
; %bb.73:                               ;   in Loop: Header=BB0_10 Depth=3
	s_and_not1_b32 vcc_lo, exec_lo, s78
	s_cbranch_vccnz .LBB0_89
; %bb.74:                               ;   in Loop: Header=BB0_10 Depth=3
	v_max_i32_e32 v3, v19, v20
	s_delay_alu instid0(VALU_DEP_1) | instskip(NEXT) | instid1(VALU_DEP_1)
	v_mul_hi_u32 v4, v3, s71
	v_mul_lo_u32 v4, v4, s63
	s_delay_alu instid0(VALU_DEP_1) | instskip(NEXT) | instid1(VALU_DEP_1)
	v_sub_nc_u32_e32 v3, v3, v4
	v_subrev_nc_u32_e32 v4, s63, v3
	v_cmp_le_u32_e32 vcc_lo, s63, v3
	s_delay_alu instid0(VALU_DEP_2) | instskip(NEXT) | instid1(VALU_DEP_1)
	v_cndmask_b32_e32 v3, v3, v4, vcc_lo
	v_subrev_nc_u32_e32 v4, s63, v3
	v_cmp_le_u32_e32 vcc_lo, s63, v3
	s_delay_alu instid0(VALU_DEP_2) | instskip(SKIP_1) | instid1(VALU_DEP_1)
	v_cndmask_b32_e32 v3, v3, v4, vcc_lo
	s_and_not1_b32 vcc_lo, exec_lo, s57
	v_xor_b32_e32 v3, v3, v18
	s_delay_alu instid0(VALU_DEP_1) | instskip(NEXT) | instid1(VALU_DEP_1)
	v_sub_nc_u32_e32 v3, v3, v18
	v_add_nc_u32_e32 v5, v16, v3
	s_delay_alu instid0(VALU_DEP_1)
	v_ashrrev_i32_e32 v6, 31, v5
	s_cbranch_vccnz .LBB0_76
; %bb.75:                               ;   in Loop: Header=BB0_10 Depth=3
	v_add_co_u32 v3, vcc_lo, s38, v5
	s_delay_alu instid0(VALU_DEP_2)
	v_add_co_ci_u32_e32 v4, vcc_lo, s39, v6, vcc_lo
	global_store_b8 v[3:4], v14, off
.LBB0_76:                               ;   in Loop: Header=BB0_10 Depth=3
	v_add_co_u32 v3, vcc_lo, s16, v5
	s_delay_alu instid0(VALU_DEP_2)
	v_add_co_ci_u32_e32 v4, vcc_lo, s17, v6, vcc_lo
	s_getpc_b64 s[84:85]
	s_add_u32 s84, s84, _ZL3C_p@gotpcrel32@lo+4
	s_addc_u32 s85, s85, _ZL3C_p@gotpcrel32@hi+12
	s_mov_b32 s4, exec_lo
	s_load_b64 s[84:85], s[84:85], 0x0
	global_load_u8 v21, v[3:4], off
	s_waitcnt vmcnt(0)
	v_bfe_i32 v22, v21, 0, 8
	s_delay_alu instid0(VALU_DEP_1) | instskip(SKIP_2) | instid1(VALU_DEP_2)
	v_ashrrev_i32_e32 v23, 31, v22
	s_waitcnt lgkmcnt(0)
	v_add_co_u32 v22, vcc_lo, s84, v22
	v_add_co_ci_u32_e32 v23, vcc_lo, s85, v23, vcc_lo
	s_clause 0x1
	global_load_i8 v22, v[22:23], off
	global_load_i8 v23, v7, s[22:23]
	s_waitcnt vmcnt(0)
	v_cmpx_ge_i16_e64 v22, v23
	s_xor_b32 s84, exec_lo, s4
	s_cbranch_execz .LBB0_85
; %bb.77:                               ;   in Loop: Header=BB0_10 Depth=3
	v_and_b32_e32 v5, 0xff, v21
	s_and_not1_b32 vcc_lo, exec_lo, s14
	s_delay_alu instid0(VALU_DEP_1)
	v_cmp_ne_u16_e64 s4, 4, v5
	s_cbranch_vccnz .LBB0_80
; %bb.78:                               ;   in Loop: Header=BB0_10 Depth=3
	v_add_nc_u16 v6, v21, -9
	s_delay_alu instid0(VALU_DEP_1) | instskip(NEXT) | instid1(VALU_DEP_1)
	v_and_b32_e32 v6, 0xff, v6
	v_cmp_lt_u16_e32 vcc_lo, 0xfd, v6
	s_or_b32 s85, s70, vcc_lo
	s_delay_alu instid0(SALU_CYCLE_1) | instskip(NEXT) | instid1(SALU_CYCLE_1)
	s_and_b32 s4, s4, s85
	s_and_b32 s4, s4, exec_lo
	s_cbranch_execz .LBB0_81
	s_branch .LBB0_82
.LBB0_79:                               ;   in Loop: Header=BB0_10 Depth=3
	s_branch .LBB0_90
.LBB0_80:                               ;   in Loop: Header=BB0_10 Depth=3
	s_mov_b32 s4, 0
.LBB0_81:                               ;   in Loop: Header=BB0_10 Depth=3
	v_cmp_ne_u16_e32 vcc_lo, 4, v5
	s_and_not1_b32 s4, s4, exec_lo
	s_and_b32 s85, vcc_lo, exec_lo
	s_delay_alu instid0(SALU_CYCLE_1)
	s_or_b32 s4, s4, s85
.LBB0_82:                               ;   in Loop: Header=BB0_10 Depth=3
	s_delay_alu instid0(SALU_CYCLE_1)
	s_and_saveexec_b32 s85, s4
	s_cbranch_execz .LBB0_84
; %bb.83:                               ;   in Loop: Header=BB0_10 Depth=3
	global_store_b8 v[3:4], v10, off
.LBB0_84:                               ;   in Loop: Header=BB0_10 Depth=3
	s_or_b32 exec_lo, exec_lo, s85
                                        ; implicit-def: $vgpr3_vgpr4
                                        ; implicit-def: $vgpr5_vgpr6
.LBB0_85:                               ;   in Loop: Header=BB0_10 Depth=3
	s_and_not1_saveexec_b32 s4, s84
	s_cbranch_execz .LBB0_88
; %bb.86:                               ;   in Loop: Header=BB0_10 Depth=3
	v_mov_b32_e32 v21, s37
	s_and_not1_b32 vcc_lo, exec_lo, s58
	global_store_b8 v[3:4], v21, off
	s_cbranch_vccnz .LBB0_88
; %bb.87:                               ;   in Loop: Header=BB0_10 Depth=3
	v_lshlrev_b64 v[3:4], 2, v[5:6]
	s_delay_alu instid0(VALU_DEP_1) | instskip(NEXT) | instid1(VALU_DEP_2)
	v_add_co_u32 v3, vcc_lo, s18, v3
	v_add_co_ci_u32_e32 v4, vcc_lo, s19, v4, vcc_lo
	global_store_b32 v[3:4], v8, off
.LBB0_88:                               ;   in Loop: Header=BB0_10 Depth=3
	s_or_b32 exec_lo, exec_lo, s4
.LBB0_89:                               ;   in Loop: Header=BB0_10 Depth=3
	s_cbranch_execnz .LBB0_9
.LBB0_90:                               ;   in Loop: Header=BB0_10 Depth=3
	v_max_i32_e32 v3, v19, v20
	s_delay_alu instid0(VALU_DEP_1) | instskip(NEXT) | instid1(VALU_DEP_1)
	v_mul_hi_u32 v4, v3, s71
	v_mul_lo_u32 v4, v4, s63
	s_delay_alu instid0(VALU_DEP_1) | instskip(NEXT) | instid1(VALU_DEP_1)
	v_sub_nc_u32_e32 v3, v3, v4
	v_subrev_nc_u32_e32 v4, s63, v3
	v_cmp_le_u32_e32 vcc_lo, s63, v3
	s_delay_alu instid0(VALU_DEP_2) | instskip(NEXT) | instid1(VALU_DEP_1)
	v_cndmask_b32_e32 v3, v3, v4, vcc_lo
	v_subrev_nc_u32_e32 v4, s63, v3
	v_cmp_le_u32_e32 vcc_lo, s63, v3
	s_delay_alu instid0(VALU_DEP_2) | instskip(SKIP_1) | instid1(VALU_DEP_1)
	v_cndmask_b32_e32 v3, v3, v4, vcc_lo
	s_and_not1_b32 vcc_lo, exec_lo, s59
	v_xor_b32_e32 v3, v3, v18
	s_delay_alu instid0(VALU_DEP_1) | instskip(NEXT) | instid1(VALU_DEP_1)
	v_sub_nc_u32_e32 v3, v3, v18
	v_add_nc_u32_e32 v5, v16, v3
	s_delay_alu instid0(VALU_DEP_1)
	v_ashrrev_i32_e32 v6, 31, v5
	s_cbranch_vccnz .LBB0_92
; %bb.91:                               ;   in Loop: Header=BB0_10 Depth=3
	v_add_co_u32 v3, vcc_lo, s38, v5
	s_delay_alu instid0(VALU_DEP_2)
	v_add_co_ci_u32_e32 v4, vcc_lo, s39, v6, vcc_lo
	global_store_b8 v[3:4], v8, off
.LBB0_92:                               ;   in Loop: Header=BB0_10 Depth=3
	v_add_co_u32 v3, vcc_lo, s16, v5
	s_delay_alu instid0(VALU_DEP_2)
	v_add_co_ci_u32_e32 v4, vcc_lo, s17, v6, vcc_lo
	s_getpc_b64 s[84:85]
	s_add_u32 s84, s84, _ZL3C_p@gotpcrel32@lo+4
	s_addc_u32 s85, s85, _ZL3C_p@gotpcrel32@hi+12
	s_mov_b32 s4, exec_lo
	s_load_b64 s[84:85], s[84:85], 0x0
	global_load_u8 v18, v[3:4], off
	s_waitcnt vmcnt(0)
	v_bfe_i32 v19, v18, 0, 8
	s_delay_alu instid0(VALU_DEP_1) | instskip(SKIP_2) | instid1(VALU_DEP_2)
	v_ashrrev_i32_e32 v20, 31, v19
	s_waitcnt lgkmcnt(0)
	v_add_co_u32 v19, vcc_lo, s84, v19
	v_add_co_ci_u32_e32 v20, vcc_lo, s85, v20, vcc_lo
	s_clause 0x1
	global_load_i8 v19, v[19:20], off
	global_load_i8 v20, v7, s[44:45]
	s_waitcnt vmcnt(0)
	v_cmpx_ge_i16_e64 v19, v20
	s_xor_b32 s84, exec_lo, s4
	s_cbranch_execz .LBB0_100
; %bb.93:                               ;   in Loop: Header=BB0_10 Depth=3
	v_and_b32_e32 v5, 0xff, v18
	s_and_not1_b32 vcc_lo, exec_lo, s60
	s_delay_alu instid0(VALU_DEP_1)
	v_cmp_ne_u16_e64 s4, 4, v5
	s_cbranch_vccnz .LBB0_95
; %bb.94:                               ;   in Loop: Header=BB0_10 Depth=3
	v_add_nc_u16 v6, v18, -9
	s_delay_alu instid0(VALU_DEP_1) | instskip(NEXT) | instid1(VALU_DEP_1)
	v_and_b32_e32 v6, 0xff, v6
	v_cmp_lt_u16_e32 vcc_lo, 0xfd, v6
	s_or_b32 s85, s73, vcc_lo
	s_delay_alu instid0(SALU_CYCLE_1) | instskip(NEXT) | instid1(SALU_CYCLE_1)
	s_and_b32 s4, s4, s85
	s_and_b32 s4, s4, exec_lo
	s_cbranch_execz .LBB0_96
	s_branch .LBB0_97
.LBB0_95:                               ;   in Loop: Header=BB0_10 Depth=3
	s_mov_b32 s4, 0
.LBB0_96:                               ;   in Loop: Header=BB0_10 Depth=3
	v_cmp_ne_u16_e32 vcc_lo, 4, v5
	s_and_not1_b32 s4, s4, exec_lo
	s_and_b32 s85, vcc_lo, exec_lo
	s_delay_alu instid0(SALU_CYCLE_1)
	s_or_b32 s4, s4, s85
.LBB0_97:                               ;   in Loop: Header=BB0_10 Depth=3
	s_delay_alu instid0(SALU_CYCLE_1)
	s_and_saveexec_b32 s85, s4
	s_cbranch_execz .LBB0_99
; %bb.98:                               ;   in Loop: Header=BB0_10 Depth=3
	global_store_b8 v[3:4], v10, off
.LBB0_99:                               ;   in Loop: Header=BB0_10 Depth=3
	s_or_b32 exec_lo, exec_lo, s85
                                        ; implicit-def: $vgpr3_vgpr4
                                        ; implicit-def: $vgpr5_vgpr6
.LBB0_100:                              ;   in Loop: Header=BB0_10 Depth=3
	s_and_not1_saveexec_b32 s4, s84
	s_cbranch_execz .LBB0_8
; %bb.101:                              ;   in Loop: Header=BB0_10 Depth=3
	v_mov_b32_e32 v18, s36
	s_and_not1_b32 vcc_lo, exec_lo, s61
	global_store_b8 v[3:4], v18, off
	s_cbranch_vccnz .LBB0_8
; %bb.102:                              ;   in Loop: Header=BB0_10 Depth=3
	v_lshlrev_b64 v[3:4], 2, v[5:6]
	s_delay_alu instid0(VALU_DEP_1) | instskip(NEXT) | instid1(VALU_DEP_2)
	v_add_co_u32 v3, vcc_lo, s18, v3
	v_add_co_ci_u32_e32 v4, vcc_lo, s19, v4, vcc_lo
	global_store_b32 v[3:4], v8, off
	s_branch .LBB0_8
.LBB0_103:
	s_nop 0
	s_sendmsg sendmsg(MSG_DEALLOC_VGPRS)
	s_endpgm
	.section	.rodata,"a",@progbits
	.p2align	6, 0x0
	.amdhsa_kernel _Z9make_flagPcPiS_5BoxCU10outer_walliiii
		.amdhsa_group_segment_fixed_size 0
		.amdhsa_private_segment_fixed_size 0
		.amdhsa_kernarg_size 344
		.amdhsa_user_sgpr_count 13
		.amdhsa_user_sgpr_dispatch_ptr 0
		.amdhsa_user_sgpr_queue_ptr 0
		.amdhsa_user_sgpr_kernarg_segment_ptr 1
		.amdhsa_user_sgpr_dispatch_id 0
		.amdhsa_user_sgpr_private_segment_size 0
		.amdhsa_wavefront_size32 1
		.amdhsa_uses_dynamic_stack 0
		.amdhsa_enable_private_segment 0
		.amdhsa_system_sgpr_workgroup_id_x 1
		.amdhsa_system_sgpr_workgroup_id_y 1
		.amdhsa_system_sgpr_workgroup_id_z 1
		.amdhsa_system_sgpr_workgroup_info 0
		.amdhsa_system_vgpr_workitem_id 1
		.amdhsa_next_free_vgpr 24
		.amdhsa_next_free_sgpr 88
		.amdhsa_reserve_vcc 1
		.amdhsa_float_round_mode_32 0
		.amdhsa_float_round_mode_16_64 0
		.amdhsa_float_denorm_mode_32 3
		.amdhsa_float_denorm_mode_16_64 3
		.amdhsa_dx10_clamp 1
		.amdhsa_ieee_mode 1
		.amdhsa_fp16_overflow 0
		.amdhsa_workgroup_processor_mode 1
		.amdhsa_memory_ordered 1
		.amdhsa_forward_progress 0
		.amdhsa_shared_vgpr_count 0
		.amdhsa_exception_fp_ieee_invalid_op 0
		.amdhsa_exception_fp_denorm_src 0
		.amdhsa_exception_fp_ieee_div_zero 0
		.amdhsa_exception_fp_ieee_overflow 0
		.amdhsa_exception_fp_ieee_underflow 0
		.amdhsa_exception_fp_ieee_inexact 0
		.amdhsa_exception_int_div_zero 0
	.end_amdhsa_kernel
	.text
.Lfunc_end0:
	.size	_Z9make_flagPcPiS_5BoxCU10outer_walliiii, .Lfunc_end0-_Z9make_flagPcPiS_5BoxCU10outer_walliiii
                                        ; -- End function
	.section	.AMDGPU.csdata,"",@progbits
; Kernel info:
; codeLenInByte = 3912
; NumSgprs: 90
; NumVgprs: 24
; ScratchSize: 0
; MemoryBound: 0
; FloatMode: 240
; IeeeMode: 1
; LDSByteSize: 0 bytes/workgroup (compile time only)
; SGPRBlocks: 11
; VGPRBlocks: 2
; NumSGPRsForWavesPerEU: 90
; NumVGPRsForWavesPerEU: 24
; Occupancy: 16
; WaveLimiterHint : 0
; COMPUTE_PGM_RSRC2:SCRATCH_EN: 0
; COMPUTE_PGM_RSRC2:USER_SGPR: 13
; COMPUTE_PGM_RSRC2:TRAP_HANDLER: 0
; COMPUTE_PGM_RSRC2:TGID_X_EN: 1
; COMPUTE_PGM_RSRC2:TGID_Y_EN: 1
; COMPUTE_PGM_RSRC2:TGID_Z_EN: 1
; COMPUTE_PGM_RSRC2:TIDIG_COMP_CNT: 1
	.section	.text._Z9find_wallILi19EEvPcS0_Pi5BoxCUi,"axG",@progbits,_Z9find_wallILi19EEvPcS0_Pi5BoxCUi,comdat
	.protected	_Z9find_wallILi19EEvPcS0_Pi5BoxCUi ; -- Begin function _Z9find_wallILi19EEvPcS0_Pi5BoxCUi
	.globl	_Z9find_wallILi19EEvPcS0_Pi5BoxCUi
	.p2align	8
	.type	_Z9find_wallILi19EEvPcS0_Pi5BoxCUi,@function
_Z9find_wallILi19EEvPcS0_Pi5BoxCUi:     ; @_Z9find_wallILi19EEvPcS0_Pi5BoxCUi
; %bb.0:
	s_load_b32 s12, s[0:1], 0x2c
	s_add_u32 s2, s0, 24
	s_addc_u32 s3, s1, 0
	s_waitcnt lgkmcnt(0)
	s_cmp_ge_i32 s15, s12
	s_cbranch_scc1 .LBB1_20
; %bb.1:
	s_clause 0x1
	s_load_b32 s18, s[2:3], 0xc
	s_load_b32 s19, s[2:3], 0x4
	s_add_u32 s2, s0, 56
	s_addc_u32 s3, s1, 0
	s_abs_i32 s22, s12
	s_clause 0x1
	s_load_b32 s16, s[0:1], 0x44
	s_load_b64 s[8:9], s[0:1], 0x3c
	v_cvt_f32_u32_e32 v3, s22
	v_mov_b32_e32 v15, 0
	s_delay_alu instid0(VALU_DEP_2)
	v_rcp_iflag_f32_e32 v4, v3
	v_bfe_u32 v3, v0, 10, 10
	v_and_b32_e32 v0, 0x3ff, v0
	s_waitcnt lgkmcnt(0)
	s_abs_i32 s20, s18
	s_abs_i32 s21, s19
	v_cvt_f32_u32_e32 v1, s20
	v_cvt_f32_u32_e32 v2, s21
	s_sub_i32 s4, 0, s20
	s_sub_i32 s5, 0, s21
	s_delay_alu instid0(VALU_DEP_2) | instskip(NEXT) | instid1(VALU_DEP_1)
	v_rcp_iflag_f32_e32 v1, v1
	v_rcp_iflag_f32_e32 v2, v2
	s_waitcnt_depctr 0xfff
	v_dual_mul_f32 v1, 0x4f7ffffe, v1 :: v_dual_mul_f32 v2, 0x4f7ffffe, v2
	s_delay_alu instid0(VALU_DEP_1) | instskip(NEXT) | instid1(VALU_DEP_2)
	v_cvt_u32_f32_e32 v5, v1
	v_cvt_u32_f32_e32 v6, v2
	v_mul_f32_e32 v1, 0x4f7ffffe, v4
	s_delay_alu instid0(VALU_DEP_3) | instskip(NEXT) | instid1(VALU_DEP_3)
	v_mul_lo_u32 v4, s4, v5
	v_mul_lo_u32 v7, s5, v6
	s_clause 0x1
	s_load_b128 s[4:7], s[0:1], 0x0
	s_load_b64 s[10:11], s[0:1], 0x10
	s_lshr_b32 s0, s16, 16
	v_cvt_u32_f32_e32 v8, v1
	s_mul_i32 s8, s8, s0
	v_mad_u64_u32 v[1:2], null, s14, s0, v[3:4]
	v_mul_hi_u32 v2, v5, v4
	v_mul_hi_u32 v3, v6, v7
	v_readfirstlane_b32 s1, v8
	s_sub_i32 s14, 0, s22
	s_delay_alu instid0(VALU_DEP_4) | instskip(NEXT) | instid1(VALU_DEP_2)
	v_cmp_gt_i32_e32 vcc_lo, s18, v1
	s_mul_i32 s14, s14, s1
	s_delay_alu instid0(VALU_DEP_4) | instskip(NEXT) | instid1(VALU_DEP_4)
	v_add_nc_u32_e32 v13, v5, v2
	v_add_nc_u32_e32 v14, v6, v3
	s_mul_hi_u32 s14, s1, s14
	s_delay_alu instid0(SALU_CYCLE_1)
	s_add_i32 s14, s1, s14
	s_branch .LBB1_3
.LBB1_2:                                ;   in Loop: Header=BB1_3 Depth=1
	s_or_b32 exec_lo, exec_lo, s23
	s_add_i32 s15, s9, s15
	s_delay_alu instid0(SALU_CYCLE_1)
	s_cmp_ge_i32 s15, s12
	s_cbranch_scc1 .LBB1_20
.LBB1_3:                                ; =>This Loop Header: Depth=1
                                        ;     Child Loop BB1_6 Depth 2
                                        ;       Child Loop BB1_9 Depth 3
                                        ;         Child Loop BB1_13 Depth 4
	s_and_saveexec_b32 s23, vcc_lo
	s_cbranch_execz .LBB1_2
; %bb.4:                                ;   in Loop: Header=BB1_3 Depth=1
	s_clause 0x1
	s_load_b32 s0, s[2:3], 0xc
	s_load_b32 s25, s[2:3], 0x0
	s_add_i32 s24, s15, s12
	v_mov_b32_e32 v16, v1
	s_abs_i32 s1, s24
	s_mov_b32 s27, 0
	s_mul_hi_u32 s16, s1, s14
	s_delay_alu instid0(SALU_CYCLE_1) | instskip(NEXT) | instid1(SALU_CYCLE_1)
	s_mul_i32 s16, s16, s22
	s_sub_i32 s1, s1, s16
	s_ashr_i32 s16, s24, 31
	s_sub_i32 s17, s1, s22
	s_waitcnt lgkmcnt(0)
	s_and_b32 s26, s0, 0xffff
	s_cmp_ge_u32 s1, s22
	v_mad_u64_u32 v[2:3], null, s13, s26, v[0:1]
	s_cselect_b32 s0, s17, s1
	s_mul_i32 s25, s25, s26
	s_sub_i32 s1, s0, s22
	s_cmp_ge_u32 s0, s22
	s_cselect_b32 s0, s1, s0
	s_delay_alu instid0(SALU_CYCLE_1) | instskip(NEXT) | instid1(VALU_DEP_1)
	s_xor_b32 s1, s0, s16
	v_cmp_gt_i32_e64 s0, s19, v2
	s_sub_i32 s1, s1, s16
	s_delay_alu instid0(SALU_CYCLE_1)
	s_mul_i32 s26, s1, s18
	s_branch .LBB1_6
.LBB1_5:                                ;   in Loop: Header=BB1_6 Depth=2
	s_or_b32 exec_lo, exec_lo, s28
	v_add_nc_u32_e32 v16, s8, v16
	s_delay_alu instid0(VALU_DEP_1) | instskip(NEXT) | instid1(VALU_DEP_1)
	v_cmp_le_i32_e64 s1, s18, v16
	s_or_b32 s27, s1, s27
	s_delay_alu instid0(SALU_CYCLE_1)
	s_and_not1_b32 exec_lo, exec_lo, s27
	s_cbranch_execz .LBB1_2
.LBB1_6:                                ;   Parent Loop BB1_3 Depth=1
                                        ; =>  This Loop Header: Depth=2
                                        ;       Child Loop BB1_9 Depth 3
                                        ;         Child Loop BB1_13 Depth 4
	s_delay_alu instid0(VALU_DEP_1)
	s_and_saveexec_b32 s28, s0
	s_cbranch_execz .LBB1_5
; %bb.7:                                ;   in Loop: Header=BB1_6 Depth=2
	v_add_nc_u32_e32 v17, s18, v16
	v_mov_b32_e32 v19, v2
	s_mov_b32 s29, 0
	s_delay_alu instid0(VALU_DEP_2) | instskip(SKIP_1) | instid1(VALU_DEP_2)
	v_sub_nc_u32_e32 v3, 0, v17
	v_ashrrev_i32_e32 v5, 31, v17
	v_max_i32_e32 v3, v17, v3
	s_delay_alu instid0(VALU_DEP_1) | instskip(NEXT) | instid1(VALU_DEP_1)
	v_mul_hi_u32 v4, v3, v13
	v_mul_lo_u32 v4, v4, s20
	s_delay_alu instid0(VALU_DEP_1) | instskip(NEXT) | instid1(VALU_DEP_1)
	v_sub_nc_u32_e32 v3, v3, v4
	v_subrev_nc_u32_e32 v4, s20, v3
	v_cmp_le_u32_e64 s1, s20, v3
	s_delay_alu instid0(VALU_DEP_1) | instskip(NEXT) | instid1(VALU_DEP_1)
	v_cndmask_b32_e64 v3, v3, v4, s1
	v_subrev_nc_u32_e32 v4, s20, v3
	v_cmp_le_u32_e64 s1, s20, v3
	s_delay_alu instid0(VALU_DEP_1) | instskip(NEXT) | instid1(VALU_DEP_1)
	v_cndmask_b32_e64 v3, v3, v4, s1
	v_xor_b32_e32 v3, v3, v5
	s_delay_alu instid0(VALU_DEP_1) | instskip(NEXT) | instid1(VALU_DEP_1)
	v_sub_nc_u32_e32 v3, v3, v5
	v_add_nc_u32_e32 v3, s26, v3
	s_delay_alu instid0(VALU_DEP_1)
	v_mul_lo_u32 v18, v3, s19
	s_branch .LBB1_9
.LBB1_8:                                ;   in Loop: Header=BB1_9 Depth=3
	s_or_b32 exec_lo, exec_lo, s30
	v_add_nc_u32_e32 v19, s25, v19
	s_delay_alu instid0(VALU_DEP_1) | instskip(NEXT) | instid1(VALU_DEP_1)
	v_cmp_le_i32_e64 s1, s19, v19
	s_or_b32 s29, s1, s29
	s_delay_alu instid0(SALU_CYCLE_1)
	s_and_not1_b32 exec_lo, exec_lo, s29
	s_cbranch_execz .LBB1_5
.LBB1_9:                                ;   Parent Loop BB1_3 Depth=1
                                        ;     Parent Loop BB1_6 Depth=2
                                        ; =>    This Loop Header: Depth=3
                                        ;         Child Loop BB1_13 Depth 4
	v_add_nc_u32_e32 v20, s19, v19
	s_mov_b32 s30, exec_lo
	s_delay_alu instid0(VALU_DEP_1) | instskip(SKIP_1) | instid1(VALU_DEP_2)
	v_sub_nc_u32_e32 v3, 0, v20
	v_ashrrev_i32_e32 v5, 31, v20
	v_max_i32_e32 v3, v20, v3
	s_delay_alu instid0(VALU_DEP_1) | instskip(NEXT) | instid1(VALU_DEP_1)
	v_mul_hi_u32 v4, v3, v14
	v_mul_lo_u32 v4, v4, s21
	s_delay_alu instid0(VALU_DEP_1) | instskip(NEXT) | instid1(VALU_DEP_1)
	v_sub_nc_u32_e32 v3, v3, v4
	v_subrev_nc_u32_e32 v4, s21, v3
	v_cmp_le_u32_e64 s1, s21, v3
	s_delay_alu instid0(VALU_DEP_1) | instskip(NEXT) | instid1(VALU_DEP_1)
	v_cndmask_b32_e64 v3, v3, v4, s1
	v_subrev_nc_u32_e32 v4, s21, v3
	v_cmp_le_u32_e64 s1, s21, v3
	s_delay_alu instid0(VALU_DEP_1) | instskip(NEXT) | instid1(VALU_DEP_1)
	v_cndmask_b32_e64 v3, v3, v4, s1
	v_xor_b32_e32 v3, v3, v5
	s_delay_alu instid0(VALU_DEP_1) | instskip(NEXT) | instid1(VALU_DEP_1)
	v_sub_nc_u32_e32 v3, v3, v5
	v_add_nc_u32_e32 v5, v18, v3
	s_delay_alu instid0(VALU_DEP_1) | instskip(SKIP_1) | instid1(VALU_DEP_1)
	v_ashrrev_i32_e32 v6, 31, v5
	v_add_co_u32 v3, s1, s4, v5
	v_add_co_ci_u32_e64 v4, s1, s5, v6, s1
	global_load_i8 v21, v[3:4], off
	s_waitcnt vmcnt(0)
	v_cmpx_gt_i16_e32 4, v21
	s_cbranch_execz .LBB1_8
; %bb.10:                               ;   in Loop: Header=BB1_9 Depth=3
	v_lshlrev_b64 v[7:8], 2, v[5:6]
	v_add_co_u32 v5, s1, s6, v5
	s_delay_alu instid0(VALU_DEP_1) | instskip(SKIP_1) | instid1(VALU_DEP_3)
	v_add_co_ci_u32_e64 v6, s1, s7, v6, s1
	s_mov_b64 s[16:17], 0
	v_add_co_u32 v7, s1, s10, v7
	s_delay_alu instid0(VALU_DEP_1)
	v_add_co_ci_u32_e64 v8, s1, s11, v8, s1
	s_mov_b32 s31, 0
	s_branch .LBB1_13
.LBB1_11:                               ;   in Loop: Header=BB1_13 Depth=4
	s_or_b32 exec_lo, exec_lo, s34
	global_load_b32 v9, v[7:8], off
	v_mul_lo_u16 v10, 0xab, v12
	s_cmp_lt_u32 s16, 30
	s_cselect_b32 s1, 8, -10
	s_delay_alu instid0(VALU_DEP_1) | instskip(NEXT) | instid1(VALU_DEP_1)
	v_lshrrev_b16 v10, 9, v10
	v_and_b32_e32 v10, 0xffff, v10
	s_delay_alu instid0(VALU_DEP_1) | instskip(SKIP_1) | instid1(VALU_DEP_1)
	v_add_nc_u32_e32 v10, s1, v10
	s_waitcnt vmcnt(0)
	v_lshl_or_b32 v10, 2, v10, v9
	v_mov_b32_e32 v9, s16
	global_store_b32 v[7:8], v10, off
.LBB1_12:                               ;   in Loop: Header=BB1_13 Depth=4
	s_or_b32 exec_lo, exec_lo, s33
	s_delay_alu instid0(VALU_DEP_1) | instskip(NEXT) | instid1(VALU_DEP_1)
	v_cmp_lt_u32_e64 s1, 53, v9
	s_or_b32 s31, s1, s31
	s_delay_alu instid0(SALU_CYCLE_1)
	s_and_not1_b32 exec_lo, exec_lo, s31
	s_cbranch_execz .LBB1_8
.LBB1_13:                               ;   Parent Loop BB1_3 Depth=1
                                        ;     Parent Loop BB1_6 Depth=2
                                        ;       Parent Loop BB1_9 Depth=3
                                        ; =>      This Inner Loop Header: Depth=4
	s_mov_b64 s[34:35], s[16:17]
	s_delay_alu instid0(SALU_CYCLE_1)
	s_add_u32 s16, s34, 3
	s_addc_u32 s17, s35, 0
	s_getpc_b64 s[36:37]
	s_add_u32 s36, s36, C_dirs@rel32@lo+7
	s_addc_u32 s37, s37, C_dirs@rel32@hi+15
	s_add_u32 s36, s34, s36
	s_addc_u32 s37, s35, s37
	global_load_u16 v9, v15, s[36:37]
	s_getpc_b64 s[36:37]
	s_add_u32 s36, s36, C_dirs@rel32@lo+9
	s_addc_u32 s37, s37, C_dirs@rel32@hi+17
	s_add_u32 s34, s34, s36
	s_addc_u32 s35, s35, s37
	global_load_i8 v10, v15, s[34:35]
	s_waitcnt vmcnt(1)
	v_bfe_i32 v11, v9, 8, 8
	v_bfe_i32 v9, v9, 0, 8
	s_waitcnt vmcnt(0)
	v_readfirstlane_b32 s1, v10
	s_delay_alu instid0(VALU_DEP_3) | instskip(NEXT) | instid1(VALU_DEP_3)
	v_add_nc_u32_e32 v11, v17, v11
	v_add_nc_u32_e32 v9, v20, v9
	s_delay_alu instid0(VALU_DEP_3) | instskip(NEXT) | instid1(VALU_DEP_2)
	s_add_i32 s1, s24, s1
	v_sub_nc_u32_e32 v12, 0, v11
	s_delay_alu instid0(VALU_DEP_2)
	v_sub_nc_u32_e32 v22, 0, v9
	s_abs_i32 s33, s1
	s_ashr_i32 s35, s1, 31
	s_mul_hi_u32 s34, s33, s14
	v_max_i32_e32 v12, v11, v12
	v_max_i32_e32 v22, v9, v22
	s_mul_i32 s34, s34, s22
	v_ashrrev_i32_e32 v11, 31, v11
	s_sub_i32 s33, s33, s34
	v_mul_hi_u32 v23, v12, v13
	v_mul_hi_u32 v10, v22, v14
	s_delay_alu instid0(VALU_DEP_2) | instskip(NEXT) | instid1(VALU_DEP_2)
	v_mul_lo_u32 v23, v23, s20
	v_mul_lo_u32 v10, v10, s21
	s_delay_alu instid0(VALU_DEP_2) | instskip(NEXT) | instid1(VALU_DEP_2)
	v_sub_nc_u32_e32 v12, v12, v23
	v_sub_nc_u32_e32 v10, v22, v10
	s_delay_alu instid0(VALU_DEP_2) | instskip(SKIP_1) | instid1(VALU_DEP_3)
	v_subrev_nc_u32_e32 v23, s20, v12
	v_cmp_le_u32_e64 s1, s20, v12
	v_subrev_nc_u32_e32 v22, s21, v10
	s_delay_alu instid0(VALU_DEP_2)
	v_cndmask_b32_e64 v12, v12, v23, s1
	s_sub_i32 s1, s33, s22
	s_cmp_ge_u32 s33, s22
	s_cselect_b32 s33, s1, s33
	v_cmp_le_u32_e64 s1, s21, v10
	v_subrev_nc_u32_e32 v23, s20, v12
	s_delay_alu instid0(VALU_DEP_2) | instskip(SKIP_2) | instid1(VALU_DEP_3)
	v_cndmask_b32_e64 v10, v10, v22, s1
	v_cmp_le_u32_e64 s1, s20, v12
	v_ashrrev_i32_e32 v22, 31, v9
	v_subrev_nc_u32_e32 v9, s21, v10
	s_delay_alu instid0(VALU_DEP_3)
	v_cndmask_b32_e64 v12, v12, v23, s1
	s_sub_i32 s1, s33, s22
	s_cmp_ge_u32 s33, s22
	s_cselect_b32 s33, s1, s33
	v_cmp_le_u32_e64 s1, s21, v10
	v_xor_b32_e32 v12, v12, v11
	s_delay_alu instid0(VALU_DEP_2) | instskip(NEXT) | instid1(VALU_DEP_2)
	v_cndmask_b32_e64 v10, v10, v9, s1
	v_sub_nc_u32_e32 v9, v12, v11
	s_xor_b32 s1, s33, s35
	s_mov_b32 s33, exec_lo
	s_sub_i32 s1, s1, s35
	v_xor_b32_e32 v12, v10, v22
	v_mad_u64_u32 v[10:11], null, s1, s18, v[9:10]
	s_delay_alu instid0(VALU_DEP_2) | instskip(NEXT) | instid1(VALU_DEP_1)
	v_sub_nc_u32_e32 v9, v12, v22
	v_mad_u64_u32 v[11:12], null, v10, s19, v[9:10]
	v_and_b32_e64 v12, 0xff, s16
	s_delay_alu instid0(VALU_DEP_2) | instskip(SKIP_1) | instid1(VALU_DEP_1)
	v_ashrrev_i32_e32 v23, 31, v11
	v_add_co_u32 v9, s1, s4, v11
	v_add_co_ci_u32_e64 v10, s1, s5, v23, s1
	global_load_u8 v22, v[9:10], off
	s_waitcnt vmcnt(0)
	v_cmpx_eq_u16_e32 10, v22
	s_cbranch_execz .LBB1_15
; %bb.14:                               ;   in Loop: Header=BB1_13 Depth=4
	v_add_co_u32 v22, s1, s6, v11
	s_delay_alu instid0(VALU_DEP_1)
	v_add_co_ci_u32_e64 v23, s1, s7, v23, s1
	v_mov_b32_e32 v21, 2
	s_cmp_lt_u32 s16, 30
	global_load_b32 v11, v[7:8], off
	global_load_u8 v23, v[22:23], off
	s_cselect_b32 s1, 8, -10
	global_store_b8 v[3:4], v21, off
	global_load_u8 v22, v[9:10], off
	v_mul_lo_u16 v9, 0xab, v12
	s_delay_alu instid0(VALU_DEP_1) | instskip(NEXT) | instid1(VALU_DEP_1)
	v_lshrrev_b16 v9, 9, v9
	v_and_b32_e32 v9, 0xffff, v9
	s_delay_alu instid0(VALU_DEP_1) | instskip(SKIP_1) | instid1(VALU_DEP_1)
	v_add_nc_u32_e32 v9, s1, v9
	s_waitcnt vmcnt(2)
	v_lshl_or_b32 v9, 2, v9, v11
	s_waitcnt vmcnt(1)
	global_store_b8 v[5:6], v23, off
	global_store_b32 v[7:8], v9, off
.LBB1_15:                               ;   in Loop: Header=BB1_13 Depth=4
	s_or_b32 exec_lo, exec_lo, s33
	s_waitcnt vmcnt(0)
	v_and_b32_e32 v9, 0xff, v22
	s_delay_alu instid0(VALU_DEP_1) | instskip(NEXT) | instid1(VALU_DEP_1)
	v_cmp_ne_u16_e64 s1, 4, v9
	s_and_saveexec_b32 s33, s1
	s_delay_alu instid0(SALU_CYCLE_1)
	s_xor_b32 s1, exec_lo, s33
; %bb.16:                               ;   in Loop: Header=BB1_13 Depth=4
                                        ; implicit-def: $vgpr12
; %bb.17:                               ;   in Loop: Header=BB1_13 Depth=4
	s_delay_alu instid0(SALU_CYCLE_1)
	s_or_saveexec_b32 s33, s1
	v_mov_b32_e32 v9, s16
	s_xor_b32 exec_lo, exec_lo, s33
	s_cbranch_execz .LBB1_12
; %bb.18:                               ;   in Loop: Header=BB1_13 Depth=4
	v_and_b32_e32 v9, 0xff, v21
	v_mov_b32_e32 v21, 2
	s_mov_b32 s34, exec_lo
	s_delay_alu instid0(VALU_DEP_2)
	v_cmpx_ne_u16_e32 2, v9
	s_cbranch_execz .LBB1_11
; %bb.19:                               ;   in Loop: Header=BB1_13 Depth=4
	v_mov_b32_e32 v21, 3
	global_store_b8 v[3:4], v21, off
	s_branch .LBB1_11
.LBB1_20:
	s_nop 0
	s_sendmsg sendmsg(MSG_DEALLOC_VGPRS)
	s_endpgm
	.section	.rodata,"a",@progbits
	.p2align	6, 0x0
	.amdhsa_kernel _Z9find_wallILi19EEvPcS0_Pi5BoxCUi
		.amdhsa_group_segment_fixed_size 0
		.amdhsa_private_segment_fixed_size 0
		.amdhsa_kernarg_size 312
		.amdhsa_user_sgpr_count 13
		.amdhsa_user_sgpr_dispatch_ptr 0
		.amdhsa_user_sgpr_queue_ptr 0
		.amdhsa_user_sgpr_kernarg_segment_ptr 1
		.amdhsa_user_sgpr_dispatch_id 0
		.amdhsa_user_sgpr_private_segment_size 0
		.amdhsa_wavefront_size32 1
		.amdhsa_uses_dynamic_stack 0
		.amdhsa_enable_private_segment 0
		.amdhsa_system_sgpr_workgroup_id_x 1
		.amdhsa_system_sgpr_workgroup_id_y 1
		.amdhsa_system_sgpr_workgroup_id_z 1
		.amdhsa_system_sgpr_workgroup_info 0
		.amdhsa_system_vgpr_workitem_id 1
		.amdhsa_next_free_vgpr 24
		.amdhsa_next_free_sgpr 38
		.amdhsa_reserve_vcc 1
		.amdhsa_float_round_mode_32 0
		.amdhsa_float_round_mode_16_64 0
		.amdhsa_float_denorm_mode_32 3
		.amdhsa_float_denorm_mode_16_64 3
		.amdhsa_dx10_clamp 1
		.amdhsa_ieee_mode 1
		.amdhsa_fp16_overflow 0
		.amdhsa_workgroup_processor_mode 1
		.amdhsa_memory_ordered 1
		.amdhsa_forward_progress 0
		.amdhsa_shared_vgpr_count 0
		.amdhsa_exception_fp_ieee_invalid_op 0
		.amdhsa_exception_fp_denorm_src 0
		.amdhsa_exception_fp_ieee_div_zero 0
		.amdhsa_exception_fp_ieee_overflow 0
		.amdhsa_exception_fp_ieee_underflow 0
		.amdhsa_exception_fp_ieee_inexact 0
		.amdhsa_exception_int_div_zero 0
	.end_amdhsa_kernel
	.section	.text._Z9find_wallILi19EEvPcS0_Pi5BoxCUi,"axG",@progbits,_Z9find_wallILi19EEvPcS0_Pi5BoxCUi,comdat
.Lfunc_end1:
	.size	_Z9find_wallILi19EEvPcS0_Pi5BoxCUi, .Lfunc_end1-_Z9find_wallILi19EEvPcS0_Pi5BoxCUi
                                        ; -- End function
	.section	.AMDGPU.csdata,"",@progbits
; Kernel info:
; codeLenInByte = 1744
; NumSgprs: 40
; NumVgprs: 24
; ScratchSize: 0
; MemoryBound: 0
; FloatMode: 240
; IeeeMode: 1
; LDSByteSize: 0 bytes/workgroup (compile time only)
; SGPRBlocks: 4
; VGPRBlocks: 2
; NumSGPRsForWavesPerEU: 40
; NumVGPRsForWavesPerEU: 24
; Occupancy: 16
; WaveLimiterHint : 0
; COMPUTE_PGM_RSRC2:SCRATCH_EN: 0
; COMPUTE_PGM_RSRC2:USER_SGPR: 13
; COMPUTE_PGM_RSRC2:TRAP_HANDLER: 0
; COMPUTE_PGM_RSRC2:TGID_X_EN: 1
; COMPUTE_PGM_RSRC2:TGID_Y_EN: 1
; COMPUTE_PGM_RSRC2:TGID_Z_EN: 1
; COMPUTE_PGM_RSRC2:TIDIG_COMP_CNT: 1
	.section	.text._Z15init_velocity_gIL12lattice_type19EEv8lbm_vars5BoxCUS2_dfffd,"axG",@progbits,_Z15init_velocity_gIL12lattice_type19EEv8lbm_vars5BoxCUS2_dfffd,comdat
	.protected	_Z15init_velocity_gIL12lattice_type19EEv8lbm_vars5BoxCUS2_dfffd ; -- Begin function _Z15init_velocity_gIL12lattice_type19EEv8lbm_vars5BoxCUS2_dfffd
	.globl	_Z15init_velocity_gIL12lattice_type19EEv8lbm_vars5BoxCUS2_dfffd
	.p2align	8
	.type	_Z15init_velocity_gIL12lattice_type19EEv8lbm_vars5BoxCUS2_dfffd,@function
_Z15init_velocity_gIL12lattice_type19EEv8lbm_vars5BoxCUS2_dfffd: ; @_Z15init_velocity_gIL12lattice_type19EEv8lbm_vars5BoxCUS2_dfffd
; %bb.0:
	s_load_b32 s12, s[0:1], 0x8c
	s_add_u32 s20, s0, 0x78
	s_addc_u32 s21, s1, 0
	s_waitcnt lgkmcnt(0)
	s_cmp_ge_i32 s15, s12
	s_cbranch_scc1 .LBB2_9
; %bb.1:
	s_clause 0x2
	s_load_b64 s[24:25], s[0:1], 0xc0
	s_load_b64 s[2:3], s[0:1], 0xcc
	s_load_b32 s38, s[0:1], 0xd4
	s_mov_b32 s4, 0
	s_mov_b32 s5, 0x40420000
	s_add_u32 s30, s0, 0xc8
	s_addc_u32 s31, s1, 0
	s_abs_i32 s36, s12
	s_load_b64 s[34:35], s[0:1], 0xa0
	s_sub_i32 s43, 0, s36
	s_waitcnt lgkmcnt(0)
	v_div_scale_f64 v[1:2], null, s[4:5], s[4:5], s[24:25]
	v_div_scale_f64 v[7:8], vcc_lo, s[24:25], 0x40420000, s[24:25]
	s_clause 0x3
	s_load_b128 s[4:7], s[0:1], 0xb0
	s_load_b64 s[26:27], s[0:1], 0x28
	s_load_b128 s[8:11], s[0:1], 0x48
	s_load_b64 s[28:29], s[0:1], 0x58
	s_waitcnt lgkmcnt(0)
	s_clause 0x6
	s_load_b32 s7, s[20:21], 0x4
	s_load_b128 s[16:19], s[0:1], 0x18
	s_load_b32 s33, s[20:21], 0xc
	s_load_b128 s[20:23], s[0:1], 0x90
	s_load_b32 s39, s[0:1], 0x88
	s_load_b32 s40, s[0:1], 0x80
	;; [unrolled: 1-line block ×3, first 2 shown]
	s_lshr_b32 s0, s38, 16
	s_waitcnt lgkmcnt(0)
	s_abs_i32 s37, s23
	s_abs_i32 s38, s21
	v_sub_f32_e64 v9, -s4, s5
	v_sub_f32_e64 v10, s5, s4
	v_sub_f32_e64 v11, -s4, s6
	v_sub_f32_e64 v12, s6, s4
	v_sub_f32_e64 v13, -s5, s6
	s_delay_alu instid0(VALU_DEP_4) | instskip(SKIP_3) | instid1(VALU_DEP_3)
	v_dual_mul_f32 v9, 0x40400000, v9 :: v_dual_mul_f32 v10, 0x40400000, v10
	v_sub_f32_e64 v14, s6, s5
	v_mul_f32_e32 v11, 0x40400000, v11
	s_sub_i32 s1, s40, s22
	v_cvt_f64_f32_e32 v[22:23], v9
	v_cvt_f64_f32_e32 v[24:25], v10
	v_mul_f32_e32 v10, 0x40400000, v13
	v_mul_f32_e64 v13, 0xc0400000, s6
	v_rcp_f64_e32 v[3:4], v[1:2]
	v_mul_f32_e32 v9, 0x40400000, v12
	v_cvt_f64_f32_e32 v[26:27], v11
	v_cvt_f64_f32_e32 v[30:31], v10
	v_mul_f32_e32 v52, v13, v13
	v_fma_f32 v10, 0xc0400000, s5, 1.0
	v_cvt_f64_f32_e32 v[28:29], v9
	v_mul_f32_e64 v9, 0xc0400000, s4
	v_mul_f32_e32 v11, 0x40400000, v14
	v_fma_f32 v12, 0xc0400000, s6, 1.0
	s_sub_i32 s40, s39, s34
	s_abs_i32 s34, s33
	v_mul_f32_e32 v14, v9, v9
	v_cvt_f64_f32_e32 v[32:33], v11
	v_mul_f32_e64 v11, 0xc0400000, s5
	v_cvt_f64_f32_e32 v[9:10], v10
	s_abs_i32 s39, s7
	v_cvt_f64_f32_e32 v[13:14], v14
	s_abs_i32 s22, s35
	v_mul_f32_e32 v21, v11, v11
	v_cvt_f64_f32_e32 v[11:12], v12
	s_add_i32 s35, s40, s35
	s_mul_i32 s40, s2, s0
	s_sub_i32 s2, 0, s39
	v_add_f64 v[15:16], v[22:23], 1.0
	v_mul_f64 v[17:18], v[22:23], v[22:23]
	v_add_f64 v[19:20], v[24:25], 1.0
	v_mul_f64 v[34:35], v[24:25], v[24:25]
	v_add_f64 v[36:37], v[26:27], 1.0
	s_delay_alu instid0(TRANS32_DEP_1)
	v_fma_f64 v[5:6], -v[1:2], v[3:4], 1.0
	v_mul_f64 v[38:39], v[26:27], v[26:27]
	v_add_f64 v[44:45], v[30:31], 1.0
	v_add_f64 v[40:41], v[28:29], 1.0
	v_mul_f64 v[42:43], v[28:29], v[28:29]
	v_mul_f64 v[46:47], v[30:31], v[30:31]
	v_add_f64 v[48:49], v[32:33], 1.0
	v_mul_f64 v[50:51], v[32:33], v[32:33]
	v_fma_f64 v[3:4], v[3:4], v[5:6], v[3:4]
	s_delay_alu instid0(VALU_DEP_1) | instskip(NEXT) | instid1(VALU_DEP_1)
	v_fma_f64 v[5:6], -v[1:2], v[3:4], 1.0
	v_fma_f64 v[3:4], v[3:4], v[5:6], v[3:4]
	s_delay_alu instid0(VALU_DEP_1) | instskip(NEXT) | instid1(VALU_DEP_1)
	v_mul_f64 v[5:6], v[7:8], v[3:4]
	v_fma_f64 v[1:2], -v[1:2], v[5:6], v[7:8]
	v_fma_f32 v7, 0xc0400000, s4, 1.0
	s_delay_alu instid0(VALU_DEP_1) | instskip(NEXT) | instid1(VALU_DEP_3)
	v_cvt_f64_f32_e32 v[7:8], v7
	v_div_fmas_f64 v[1:2], v[1:2], v[3:4], v[5:6]
	v_cvt_f64_f32_e32 v[3:4], v21
	v_cvt_f64_f32_e32 v[5:6], v52
	v_mul_f32_e64 v21, s5, s5
	v_fma_f64 v[7:8], v[13:14], 0.5, v[7:8]
	v_fma_f64 v[13:14], v[17:18], 0.5, v[15:16]
	s_delay_alu instid0(VALU_DEP_3)
	v_fmac_f32_e64 v21, s4, s4
	v_fma_f64 v[15:16], v[34:35], 0.5, v[19:20]
	v_fma_f64 v[17:18], v[38:39], 0.5, v[36:37]
	v_fma_f64 v[19:20], v[42:43], 0.5, v[40:41]
	v_fma_f64 v[34:35], v[46:47], 0.5, v[44:45]
	v_fmac_f32_e64 v21, s6, s6
	v_fma_f64 v[36:37], v[50:51], 0.5, v[48:49]
	v_cvt_f64_f32_e32 v[42:43], s5
	v_cvt_f64_f32_e32 v[44:45], s6
	v_cvt_f32_u32_e32 v50, s36
	v_mul_f32_e32 v21, 0x40400000, v21
	s_delay_alu instid0(VALU_DEP_1)
	v_cvt_f64_f32_e32 v[52:53], v21
	v_bfe_u32 v21, v0, 10, 10
	v_and_b32_e32 v0, 0x3ff, v0
	v_div_fixup_f64 v[38:39], v[1:2], 0x40420000, s[24:25]
	v_fma_f64 v[1:2], v[3:4], 0.5, v[9:10]
	v_fma_f64 v[3:4], v[5:6], 0.5, v[11:12]
	v_fma_f64 v[40:41], v[52:53], -0.5, v[7:8]
	v_fma_f64 v[5:6], v[52:53], -0.5, v[13:14]
	;; [unrolled: 1-line block ×7, first 2 shown]
	v_fma_f64 v[46:47], v[52:53], -0.5, 1.0
	v_cvt_f64_f32_e32 v[36:37], s4
	v_add_f64 v[34:35], v[38:39], v[38:39]
	v_fma_f64 v[17:18], v[52:53], -0.5, v[1:2]
	v_fma_f64 v[19:20], v[52:53], -0.5, v[3:4]
	v_mul_f64 v[48:49], 0x40280000, v[38:39]
	v_mul_f64 v[1:2], v[38:39], v[5:6]
	;; [unrolled: 1-line block ×7, first 2 shown]
	v_cvt_f32_u32_e32 v39, s22
	v_mul_f64 v[13:14], v[34:35], v[40:41]
	v_mul_f64 v[15:16], v[34:35], v[17:18]
	;; [unrolled: 1-line block ×3, first 2 shown]
	v_cvt_f32_u32_e32 v19, s37
	v_cvt_f32_u32_e32 v40, s39
	s_delay_alu instid0(VALU_DEP_2) | instskip(SKIP_2) | instid1(VALU_DEP_3)
	v_rcp_iflag_f32_e32 v38, v19
	v_mad_u64_u32 v[19:20], null, s14, s0, v[21:22]
	v_cvt_f32_u32_e32 v20, s34
	v_rcp_iflag_f32_e32 v40, v40
	v_rcp_iflag_f32_e32 v21, v39
	v_cvt_f32_u32_e32 v39, s38
	s_add_i32 s14, s1, s23
	v_rcp_iflag_f32_e32 v41, v20
	s_sub_i32 s1, 0, s37
	v_mul_f32_e32 v38, 0x4f7ffffe, v38
	v_rcp_iflag_f32_e32 v52, v39
	s_sub_i32 s0, 0, s34
	v_cmp_gt_i32_e32 vcc_lo, s33, v19
	s_delay_alu instid0(TRANS32_DEP_3) | instskip(SKIP_2) | instid1(TRANS32_DEP_2)
	v_dual_mul_f32 v40, 0x4f7ffffe, v40 :: v_dual_mul_f32 v53, 0x4f7ffffe, v21
	v_mul_f64 v[20:21], v[48:49], v[46:47]
	v_cvt_u32_f32_e32 v51, v38
	v_mul_f32_e32 v41, 0x4f7ffffe, v41
	s_delay_alu instid0(VALU_DEP_4)
	v_cvt_u32_f32_e32 v40, v40
	v_fma_f64 v[22:23], -v[34:35], v[22:23], v[1:2]
	v_fma_f64 v[24:25], -v[34:35], v[24:25], v[3:4]
	;; [unrolled: 1-line block ×4, first 2 shown]
	v_mul_lo_u32 v47, s2, v40
	v_fma_f64 v[30:31], -v[34:35], v[30:31], v[9:10]
	v_fma_f64 v[32:33], -v[34:35], v[32:33], v[11:12]
	v_mul_lo_u32 v54, s1, v51
	v_cvt_u32_f32_e32 v41, v41
	v_fma_f64 v[34:35], v[48:49], v[36:37], v[13:14]
	v_fma_f64 v[36:37], v[48:49], v[42:43], v[15:16]
	;; [unrolled: 1-line block ×3, first 2 shown]
	v_rcp_iflag_f32_e32 v43, v50
	v_mul_hi_u32 v47, v40, v47
	v_mul_f32_e32 v45, 0x4f7ffffe, v52
	v_cvt_u32_f32_e32 v44, v53
	v_mul_hi_u32 v42, v51, v54
	s_delay_alu instid0(VALU_DEP_3) | instskip(NEXT) | instid1(VALU_DEP_3)
	v_cvt_u32_f32_e32 v45, v45
	v_readfirstlane_b32 s1, v44
	v_mul_lo_u32 v44, s0, v41
	s_sub_i32 s0, 0, s38
	s_delay_alu instid0(TRANS32_DEP_1) | instskip(SKIP_2) | instid1(SALU_CYCLE_1)
	v_mul_f32_e32 v43, 0x4f7ffffe, v43
	v_mul_lo_u32 v46, s0, v45
	s_sub_i32 s0, 0, s22
	s_mul_i32 s0, s0, s1
	s_delay_alu instid0(VALU_DEP_2) | instskip(SKIP_3) | instid1(VALU_DEP_4)
	v_cvt_u32_f32_e32 v48, v43
	v_add_nc_u32_e32 v43, v51, v42
	v_mul_hi_u32 v42, v41, v44
	s_mul_hi_u32 s0, s1, s0
	v_mul_hi_u32 v46, v45, v46
	v_readfirstlane_b32 s2, v48
	s_add_i32 s41, s1, s0
	s_add_i32 s1, s21, s42
	s_delay_alu instid0(SALU_CYCLE_1) | instskip(NEXT) | instid1(VALU_DEP_1)
	s_sub_i32 s20, s1, s20
	s_mul_i32 s43, s43, s2
	v_add_nc_u32_e32 v44, v41, v42
	s_delay_alu instid0(VALU_DEP_3) | instskip(SKIP_2) | instid1(SALU_CYCLE_1)
	v_add_nc_u32_e32 v45, v45, v46
	v_add_nc_u32_e32 v46, v40, v47
	s_mul_hi_u32 s0, s2, s43
	s_add_i32 s42, s2, s0
	s_branch .LBB2_3
.LBB2_2:                                ;   in Loop: Header=BB2_3 Depth=1
	s_or_b32 exec_lo, exec_lo, s43
	s_add_i32 s15, s3, s15
	s_delay_alu instid0(SALU_CYCLE_1)
	s_cmp_ge_i32 s15, s12
	s_cbranch_scc1 .LBB2_9
.LBB2_3:                                ; =>This Loop Header: Depth=1
                                        ;     Child Loop BB2_6 Depth 2
                                        ;       Child Loop BB2_8 Depth 3
	s_and_saveexec_b32 s43, vcc_lo
	s_cbranch_execz .LBB2_2
; %bb.4:                                ;   in Loop: Header=BB2_3 Depth=1
	s_clause 0x1
	s_load_b32 s0, s[30:31], 0xc
	s_load_b32 s46, s[30:31], 0x0
	s_add_i32 s1, s35, s15
	s_add_i32 s45, s15, s12
	s_abs_i32 s2, s1
	s_ashr_i32 s1, s1, 31
	s_mul_hi_u32 s44, s2, s41
	v_mov_b32_e32 v47, v19
	s_mul_i32 s44, s44, s22
	s_mov_b32 s65, 0
	s_sub_i32 s2, s2, s44
	s_delay_alu instid0(SALU_CYCLE_1)
	s_sub_i32 s44, s2, s22
	s_waitcnt lgkmcnt(0)
	s_and_b32 s0, s0, 0xffff
	s_cmp_ge_u32 s2, s22
	v_mad_u64_u32 v[40:41], null, s13, s0, v[0:1]
	s_cselect_b32 s2, s44, s2
	s_delay_alu instid0(SALU_CYCLE_1)
	s_sub_i32 s44, s2, s22
	s_cmp_ge_u32 s2, s22
	s_cselect_b32 s2, s44, s2
	s_abs_i32 s44, s45
	s_xor_b32 s2, s2, s1
	s_mul_hi_u32 s47, s44, s42
	s_ashr_i32 s45, s45, 31
	s_mul_i32 s47, s47, s36
	s_sub_i32 s1, s2, s1
	s_sub_i32 s44, s44, s47
	s_delay_alu instid0(SALU_CYCLE_1) | instskip(SKIP_2) | instid1(SALU_CYCLE_1)
	s_sub_i32 s2, s44, s36
	s_cmp_ge_u32 s44, s36
	s_cselect_b32 s2, s2, s44
	s_sub_i32 s44, s2, s36
	s_cmp_ge_u32 s2, s36
	s_cselect_b32 s2, s44, s2
	s_mul_i32 s44, s46, s0
	s_xor_b32 s2, s2, s45
	v_cmp_gt_i32_e64 s0, s7, v40
	s_sub_i32 s2, s2, s45
	s_mul_i32 s45, s1, s23
	s_add_i32 s1, s2, s12
	s_mul_i32 s46, s2, s33
	s_add_i32 s2, s1, s12
	s_mul_i32 s47, s1, s33
	s_add_i32 s1, s2, s12
	s_mul_i32 s48, s2, s33
	s_add_i32 s2, s1, s12
	s_mul_i32 s49, s1, s33
	s_add_i32 s1, s2, s12
	s_mul_i32 s50, s2, s33
	s_add_i32 s2, s1, s12
	s_mul_i32 s51, s1, s33
	s_add_i32 s1, s2, s12
	s_mul_i32 s52, s2, s33
	s_add_i32 s2, s1, s12
	s_mul_i32 s53, s1, s33
	s_add_i32 s1, s2, s12
	s_mul_i32 s54, s2, s33
	s_add_i32 s2, s1, s12
	s_mul_i32 s55, s1, s33
	s_add_i32 s1, s2, s12
	s_mul_i32 s56, s2, s33
	s_add_i32 s2, s1, s12
	s_mul_i32 s57, s1, s33
	s_add_i32 s1, s2, s12
	s_mul_i32 s58, s2, s33
	s_add_i32 s2, s1, s12
	s_mul_i32 s59, s1, s33
	s_add_i32 s1, s2, s12
	s_mul_i32 s60, s2, s33
	s_add_i32 s2, s1, s12
	s_mul_i32 s61, s1, s33
	s_add_i32 s1, s2, s12
	s_mul_i32 s62, s2, s33
	s_add_i32 s64, s1, s12
	s_mul_i32 s63, s1, s33
	s_mul_i32 s64, s64, s33
	s_branch .LBB2_6
.LBB2_5:                                ;   in Loop: Header=BB2_6 Depth=2
	s_or_b32 exec_lo, exec_lo, s66
	v_add_nc_u32_e32 v47, s40, v47
	s_delay_alu instid0(VALU_DEP_1) | instskip(NEXT) | instid1(VALU_DEP_1)
	v_cmp_le_i32_e64 s1, s33, v47
	s_or_b32 s65, s1, s65
	s_delay_alu instid0(SALU_CYCLE_1)
	s_and_not1_b32 exec_lo, exec_lo, s65
	s_cbranch_execz .LBB2_2
.LBB2_6:                                ;   Parent Loop BB2_3 Depth=1
                                        ; =>  This Loop Header: Depth=2
                                        ;       Child Loop BB2_8 Depth 3
	s_and_saveexec_b32 s66, s0
	s_cbranch_execz .LBB2_5
; %bb.7:                                ;   in Loop: Header=BB2_6 Depth=2
	v_dual_mov_b32 v68, v40 :: v_dual_add_nc_u32 v41, s14, v47
	v_add_nc_u32_e32 v42, s33, v47
	s_mov_b32 s67, 0
	s_delay_alu instid0(VALU_DEP_2) | instskip(NEXT) | instid1(VALU_DEP_2)
	v_sub_nc_u32_e32 v48, 0, v41
	v_sub_nc_u32_e32 v49, 0, v42
	s_delay_alu instid0(VALU_DEP_2) | instskip(SKIP_1) | instid1(VALU_DEP_3)
	v_max_i32_e32 v48, v41, v48
	v_ashrrev_i32_e32 v41, 31, v41
	v_max_i32_e32 v49, v42, v49
	v_ashrrev_i32_e32 v42, 31, v42
	s_delay_alu instid0(VALU_DEP_4) | instskip(NEXT) | instid1(VALU_DEP_3)
	v_mul_hi_u32 v50, v48, v43
	v_mul_hi_u32 v51, v49, v44
	s_delay_alu instid0(VALU_DEP_2) | instskip(NEXT) | instid1(VALU_DEP_2)
	v_mul_lo_u32 v50, v50, s37
	v_mul_lo_u32 v51, v51, s34
	s_delay_alu instid0(VALU_DEP_2) | instskip(NEXT) | instid1(VALU_DEP_2)
	v_sub_nc_u32_e32 v48, v48, v50
	v_sub_nc_u32_e32 v49, v49, v51
	s_delay_alu instid0(VALU_DEP_2) | instskip(SKIP_1) | instid1(VALU_DEP_3)
	v_subrev_nc_u32_e32 v50, s37, v48
	v_cmp_le_u32_e64 s1, s37, v48
	v_subrev_nc_u32_e32 v51, s34, v49
	s_delay_alu instid0(VALU_DEP_2) | instskip(SKIP_1) | instid1(VALU_DEP_2)
	v_cndmask_b32_e64 v48, v48, v50, s1
	v_cmp_le_u32_e64 s1, s34, v49
	v_subrev_nc_u32_e32 v50, s37, v48
	s_delay_alu instid0(VALU_DEP_2) | instskip(SKIP_1) | instid1(VALU_DEP_2)
	v_cndmask_b32_e64 v49, v49, v51, s1
	;; [unrolled: 4-line block ×3, first 2 shown]
	v_cmp_le_u32_e64 s1, s34, v49
	v_xor_b32_e32 v48, v48, v41
	s_delay_alu instid0(VALU_DEP_2) | instskip(NEXT) | instid1(VALU_DEP_2)
	v_cndmask_b32_e64 v49, v49, v51, s1
	v_sub_nc_u32_e32 v41, v48, v41
	s_delay_alu instid0(VALU_DEP_2) | instskip(NEXT) | instid1(VALU_DEP_2)
	v_xor_b32_e32 v49, v49, v42
	v_add_nc_u32_e32 v41, s45, v41
	s_delay_alu instid0(VALU_DEP_2) | instskip(NEXT) | instid1(VALU_DEP_2)
	v_sub_nc_u32_e32 v42, v49, v42
	v_mul_lo_u32 v48, v41, s21
	s_delay_alu instid0(VALU_DEP_2)
	v_add_nc_u32_e32 v49, s46, v42
	v_add_nc_u32_e32 v50, s47, v42
	;; [unrolled: 1-line block ×19, first 2 shown]
	v_mul_lo_u32 v49, v49, s7
	v_mul_lo_u32 v50, v50, s7
	;; [unrolled: 1-line block ×19, first 2 shown]
.LBB2_8:                                ;   Parent Loop BB2_3 Depth=1
                                        ;     Parent Loop BB2_6 Depth=2
                                        ; =>    This Inner Loop Header: Depth=3
	v_add_nc_u32_e32 v70, s20, v68
	v_dual_mov_b32 v42, s25 :: v_dual_add_nc_u32 v71, s7, v68
	v_dual_mov_b32 v41, s24 :: v_dual_add_nc_u32 v68, s44, v68
	s_delay_alu instid0(VALU_DEP_3) | instskip(SKIP_1) | instid1(VALU_DEP_4)
	v_sub_nc_u32_e32 v72, 0, v70
	v_ashrrev_i32_e32 v74, 31, v70
	v_sub_nc_u32_e32 v73, 0, v71
	v_ashrrev_i32_e32 v75, 31, v71
	s_delay_alu instid0(VALU_DEP_4) | instskip(NEXT) | instid1(VALU_DEP_3)
	v_max_i32_e32 v70, v70, v72
	v_max_i32_e32 v71, v71, v73
	s_delay_alu instid0(VALU_DEP_2) | instskip(NEXT) | instid1(VALU_DEP_2)
	v_mul_hi_u32 v72, v70, v45
	v_mul_hi_u32 v73, v71, v46
	s_delay_alu instid0(VALU_DEP_2) | instskip(NEXT) | instid1(VALU_DEP_2)
	v_mul_lo_u32 v72, v72, s38
	v_mul_lo_u32 v73, v73, s39
	s_delay_alu instid0(VALU_DEP_2) | instskip(NEXT) | instid1(VALU_DEP_2)
	v_sub_nc_u32_e32 v70, v70, v72
	v_sub_nc_u32_e32 v71, v71, v73
	s_delay_alu instid0(VALU_DEP_2) | instskip(SKIP_1) | instid1(VALU_DEP_3)
	v_subrev_nc_u32_e32 v72, s38, v70
	v_cmp_le_u32_e64 s2, s38, v70
	v_subrev_nc_u32_e32 v73, s39, v71
	v_cmp_le_u32_e64 s1, s39, v71
	s_delay_alu instid0(VALU_DEP_3) | instskip(NEXT) | instid1(VALU_DEP_2)
	v_cndmask_b32_e64 v70, v70, v72, s2
	v_cndmask_b32_e64 v71, v71, v73, s1
	s_delay_alu instid0(VALU_DEP_2) | instskip(SKIP_1) | instid1(VALU_DEP_3)
	v_subrev_nc_u32_e32 v72, s38, v70
	v_cmp_le_u32_e64 s2, s38, v70
	v_subrev_nc_u32_e32 v73, s39, v71
	v_cmp_le_u32_e64 s1, s39, v71
	s_delay_alu instid0(VALU_DEP_3) | instskip(NEXT) | instid1(VALU_DEP_2)
	v_cndmask_b32_e64 v70, v70, v72, s2
	v_cndmask_b32_e64 v71, v71, v73, s1
	s_delay_alu instid0(VALU_DEP_2) | instskip(NEXT) | instid1(VALU_DEP_2)
	v_xor_b32_e32 v70, v70, v74
	v_xor_b32_e32 v71, v71, v75
	s_delay_alu instid0(VALU_DEP_2) | instskip(SKIP_1) | instid1(VALU_DEP_3)
	v_sub_nc_u32_e32 v70, v70, v74
	v_mov_b32_e32 v69, s4
	v_sub_nc_u32_e32 v144, v71, v75
	s_delay_alu instid0(VALU_DEP_3) | instskip(NEXT) | instid1(VALU_DEP_2)
	v_add_nc_u32_e32 v70, v48, v70
	v_add_nc_u32_e32 v72, v49, v144
	;; [unrolled: 1-line block ×4, first 2 shown]
	s_delay_alu instid0(VALU_DEP_4)
	v_ashrrev_i32_e32 v71, 31, v70
	v_add_nc_u32_e32 v78, v52, v144
	v_add_nc_u32_e32 v80, v53, v144
	;; [unrolled: 1-line block ×3, first 2 shown]
	v_ashrrev_i32_e32 v77, 31, v76
	v_lshlrev_b64 v[104:105], 3, v[70:71]
	v_lshlrev_b64 v[70:71], 2, v[70:71]
	v_ashrrev_i32_e32 v79, 31, v78
	v_ashrrev_i32_e32 v81, 31, v80
	v_lshlrev_b64 v[76:77], 3, v[76:77]
	v_ashrrev_i32_e32 v83, 31, v82
	v_add_co_u32 v104, s1, s8, v104
	s_delay_alu instid0(VALU_DEP_1) | instskip(SKIP_1) | instid1(VALU_DEP_1)
	v_add_co_ci_u32_e64 v105, s1, s9, v105, s1
	v_add_co_u32 v106, s1, s16, v70
	v_add_co_ci_u32_e64 v107, s1, s17, v71, s1
	v_add_co_u32 v108, s1, s18, v70
	s_delay_alu instid0(VALU_DEP_1) | instskip(SKIP_4) | instid1(VALU_DEP_1)
	v_add_co_ci_u32_e64 v109, s1, s19, v71, s1
	global_store_b32 v[106:107], v69, off
	v_mov_b32_e32 v69, s5
	v_ashrrev_i32_e32 v73, 31, v72
	v_add_co_u32 v70, s1, s26, v70
	v_add_co_ci_u32_e64 v71, s1, s27, v71, s1
	s_delay_alu instid0(VALU_DEP_3)
	v_lshlrev_b64 v[72:73], 3, v[72:73]
	global_store_b32 v[108:109], v69, off
	v_mov_b32_e32 v69, s6
	v_ashrrev_i32_e32 v75, 31, v74
	v_lshlrev_b64 v[78:79], 3, v[78:79]
	v_lshlrev_b64 v[80:81], 3, v[80:81]
	v_add_co_u32 v110, s1, s10, v72
	s_delay_alu instid0(VALU_DEP_4) | instskip(SKIP_2) | instid1(VALU_DEP_1)
	v_lshlrev_b64 v[74:75], 3, v[74:75]
	v_add_co_ci_u32_e64 v111, s1, s11, v73, s1
	v_add_co_u32 v72, s1, s28, v72
	v_add_co_ci_u32_e64 v73, s1, s29, v73, s1
	s_delay_alu instid0(VALU_DEP_4) | instskip(NEXT) | instid1(VALU_DEP_1)
	v_add_co_u32 v112, s1, s10, v74
	v_add_co_ci_u32_e64 v113, s1, s11, v75, s1
	v_add_co_u32 v74, s1, s28, v74
	s_delay_alu instid0(VALU_DEP_1) | instskip(SKIP_1) | instid1(VALU_DEP_1)
	v_add_co_ci_u32_e64 v75, s1, s29, v75, s1
	v_add_co_u32 v114, s1, s10, v76
	v_add_co_ci_u32_e64 v115, s1, s11, v77, s1
	v_add_co_u32 v76, s1, s28, v76
	s_delay_alu instid0(VALU_DEP_1) | instskip(SKIP_4) | instid1(VALU_DEP_1)
	v_add_co_ci_u32_e64 v77, s1, s29, v77, s1
	v_add_co_u32 v116, s1, s10, v78
	v_add_nc_u32_e32 v84, v55, v144
	v_add_co_ci_u32_e64 v117, s1, s11, v79, s1
	v_add_co_u32 v78, s1, s28, v78
	v_add_co_ci_u32_e64 v79, s1, s29, v79, s1
	v_lshlrev_b64 v[82:83], 3, v[82:83]
	v_add_co_u32 v118, s1, s10, v80
	v_ashrrev_i32_e32 v85, 31, v84
	v_add_nc_u32_e32 v86, v56, v144
	v_add_co_ci_u32_e64 v119, s1, s11, v81, s1
	v_add_co_u32 v80, s1, s28, v80
	s_delay_alu instid0(VALU_DEP_1)
	v_add_co_ci_u32_e64 v81, s1, s29, v81, s1
	v_lshlrev_b64 v[84:85], 3, v[84:85]
	v_add_co_u32 v120, s1, s10, v82
	v_ashrrev_i32_e32 v87, 31, v86
	v_add_nc_u32_e32 v88, v57, v144
	v_add_co_ci_u32_e64 v121, s1, s11, v83, s1
	v_add_co_u32 v82, s1, s28, v82
	s_delay_alu instid0(VALU_DEP_1)
	;; [unrolled: 8-line block ×9, first 2 shown]
	v_add_co_ci_u32_e64 v97, s1, s29, v97, s1
	v_lshlrev_b64 v[100:101], 3, v[100:101]
	v_add_co_u32 v136, s1, s10, v98
	v_ashrrev_i32_e32 v103, 31, v102
	v_add_co_ci_u32_e64 v137, s1, s11, v99, s1
	v_add_nc_u32_e32 v142, v65, v144
	v_add_co_u32 v98, s1, s28, v98
	s_delay_alu instid0(VALU_DEP_1)
	v_add_co_ci_u32_e64 v99, s1, s29, v99, s1
	v_lshlrev_b64 v[102:103], 3, v[102:103]
	v_add_co_u32 v138, s1, s10, v100
	v_ashrrev_i32_e32 v143, 31, v142
	v_add_co_ci_u32_e64 v139, s1, s11, v101, s1
	v_add_co_u32 v100, s1, s28, v100
	s_delay_alu instid0(VALU_DEP_1) | instskip(SKIP_4) | instid1(VALU_DEP_1)
	v_add_co_ci_u32_e64 v101, s1, s29, v101, s1
	v_add_co_u32 v140, s1, s10, v102
	v_lshlrev_b64 v[142:143], 3, v[142:143]
	v_add_co_ci_u32_e64 v141, s1, s11, v103, s1
	v_add_co_u32 v102, s1, s28, v102
	v_add_co_ci_u32_e64 v103, s1, s29, v103, s1
	global_store_b64 v[104:105], v[41:42], off
	v_add_co_u32 v41, s1, s10, v142
	s_delay_alu instid0(VALU_DEP_1) | instskip(SKIP_4) | instid1(VALU_DEP_3)
	v_add_co_ci_u32_e64 v42, s1, s11, v143, s1
	v_add_co_u32 v104, s1, s28, v142
	v_add_nc_u32_e32 v142, v66, v144
	v_add_co_ci_u32_e64 v105, s1, s29, v143, s1
	v_add_nc_u32_e32 v144, v67, v144
	v_ashrrev_i32_e32 v143, 31, v142
	s_delay_alu instid0(VALU_DEP_2) | instskip(NEXT) | instid1(VALU_DEP_2)
	v_ashrrev_i32_e32 v145, 31, v144
	v_lshlrev_b64 v[142:143], 3, v[142:143]
	s_delay_alu instid0(VALU_DEP_2) | instskip(NEXT) | instid1(VALU_DEP_2)
	v_lshlrev_b64 v[144:145], 3, v[144:145]
	v_add_co_u32 v106, s1, s10, v142
	s_delay_alu instid0(VALU_DEP_1) | instskip(SKIP_1) | instid1(VALU_DEP_1)
	v_add_co_ci_u32_e64 v107, s1, s11, v143, s1
	v_add_co_u32 v142, s1, s28, v142
	v_add_co_ci_u32_e64 v143, s1, s29, v143, s1
	v_add_co_u32 v108, s1, s10, v144
	s_delay_alu instid0(VALU_DEP_1) | instskip(SKIP_1) | instid1(VALU_DEP_1)
	v_add_co_ci_u32_e64 v109, s1, s11, v145, s1
	v_add_co_u32 v144, s1, s28, v144
	v_add_co_ci_u32_e64 v145, s1, s29, v145, s1
	v_cmp_le_i32_e64 s1, s7, v68
	global_store_b32 v[70:71], v69, off
	global_store_b64 v[110:111], v[20:21], off
	global_store_b64 v[72:73], v[20:21], off
	;; [unrolled: 1-line block ×38, first 2 shown]
	s_or_b32 s67, s1, s67
	s_delay_alu instid0(SALU_CYCLE_1)
	s_and_not1_b32 exec_lo, exec_lo, s67
	s_cbranch_execnz .LBB2_8
	s_branch .LBB2_5
.LBB2_9:
	s_nop 0
	s_sendmsg sendmsg(MSG_DEALLOC_VGPRS)
	s_endpgm
	.section	.rodata,"a",@progbits
	.p2align	6, 0x0
	.amdhsa_kernel _Z15init_velocity_gIL12lattice_type19EEv8lbm_vars5BoxCUS2_dfffd
		.amdhsa_group_segment_fixed_size 0
		.amdhsa_private_segment_fixed_size 0
		.amdhsa_kernarg_size 456
		.amdhsa_user_sgpr_count 13
		.amdhsa_user_sgpr_dispatch_ptr 0
		.amdhsa_user_sgpr_queue_ptr 0
		.amdhsa_user_sgpr_kernarg_segment_ptr 1
		.amdhsa_user_sgpr_dispatch_id 0
		.amdhsa_user_sgpr_private_segment_size 0
		.amdhsa_wavefront_size32 1
		.amdhsa_uses_dynamic_stack 0
		.amdhsa_enable_private_segment 0
		.amdhsa_system_sgpr_workgroup_id_x 1
		.amdhsa_system_sgpr_workgroup_id_y 1
		.amdhsa_system_sgpr_workgroup_id_z 1
		.amdhsa_system_sgpr_workgroup_info 0
		.amdhsa_system_vgpr_workitem_id 1
		.amdhsa_next_free_vgpr 146
		.amdhsa_next_free_sgpr 68
		.amdhsa_reserve_vcc 1
		.amdhsa_float_round_mode_32 0
		.amdhsa_float_round_mode_16_64 0
		.amdhsa_float_denorm_mode_32 3
		.amdhsa_float_denorm_mode_16_64 3
		.amdhsa_dx10_clamp 1
		.amdhsa_ieee_mode 1
		.amdhsa_fp16_overflow 0
		.amdhsa_workgroup_processor_mode 1
		.amdhsa_memory_ordered 1
		.amdhsa_forward_progress 0
		.amdhsa_shared_vgpr_count 0
		.amdhsa_exception_fp_ieee_invalid_op 0
		.amdhsa_exception_fp_denorm_src 0
		.amdhsa_exception_fp_ieee_div_zero 0
		.amdhsa_exception_fp_ieee_overflow 0
		.amdhsa_exception_fp_ieee_underflow 0
		.amdhsa_exception_fp_ieee_inexact 0
		.amdhsa_exception_int_div_zero 0
	.end_amdhsa_kernel
	.section	.text._Z15init_velocity_gIL12lattice_type19EEv8lbm_vars5BoxCUS2_dfffd,"axG",@progbits,_Z15init_velocity_gIL12lattice_type19EEv8lbm_vars5BoxCUS2_dfffd,comdat
.Lfunc_end2:
	.size	_Z15init_velocity_gIL12lattice_type19EEv8lbm_vars5BoxCUS2_dfffd, .Lfunc_end2-_Z15init_velocity_gIL12lattice_type19EEv8lbm_vars5BoxCUS2_dfffd
                                        ; -- End function
	.section	.AMDGPU.csdata,"",@progbits
; Kernel info:
; codeLenInByte = 3976
; NumSgprs: 70
; NumVgprs: 146
; ScratchSize: 0
; MemoryBound: 0
; FloatMode: 240
; IeeeMode: 1
; LDSByteSize: 0 bytes/workgroup (compile time only)
; SGPRBlocks: 8
; VGPRBlocks: 18
; NumSGPRsForWavesPerEU: 70
; NumVGPRsForWavesPerEU: 146
; Occupancy: 9
; WaveLimiterHint : 1
; COMPUTE_PGM_RSRC2:SCRATCH_EN: 0
; COMPUTE_PGM_RSRC2:USER_SGPR: 13
; COMPUTE_PGM_RSRC2:TRAP_HANDLER: 0
; COMPUTE_PGM_RSRC2:TGID_X_EN: 1
; COMPUTE_PGM_RSRC2:TGID_Y_EN: 1
; COMPUTE_PGM_RSRC2:TGID_Z_EN: 1
; COMPUTE_PGM_RSRC2:TIDIG_COMP_CNT: 1
	.section	.text._Z20collide_and_stream_gIL12lattice_type19EEv8lbm_vars5BoxCUddbi,"axG",@progbits,_Z20collide_and_stream_gIL12lattice_type19EEv8lbm_vars5BoxCUddbi,comdat
	.protected	_Z20collide_and_stream_gIL12lattice_type19EEv8lbm_vars5BoxCUddbi ; -- Begin function _Z20collide_and_stream_gIL12lattice_type19EEv8lbm_vars5BoxCUddbi
	.globl	_Z20collide_and_stream_gIL12lattice_type19EEv8lbm_vars5BoxCUddbi
	.p2align	8
	.type	_Z20collide_and_stream_gIL12lattice_type19EEv8lbm_vars5BoxCUddbi,@function
_Z20collide_and_stream_gIL12lattice_type19EEv8lbm_vars5BoxCUddbi: ; @_Z20collide_and_stream_gIL12lattice_type19EEv8lbm_vars5BoxCUddbi
; %bb.0:
	s_load_b32 s12, s[0:1], 0x8c
	s_add_u32 s2, s0, 0x78
	s_addc_u32 s3, s1, 0
	s_waitcnt lgkmcnt(0)
	s_cmp_ge_i32 s15, s12
	s_cbranch_scc1 .LBB3_119
; %bb.1:
	s_clause 0x5
	s_load_b128 s[16:19], s[0:1], 0x90
	s_load_b32 s28, s[0:1], 0xa0
	s_load_b64 s[24:25], s[0:1], 0x28
	s_load_b32 s33, s[2:3], 0x4
	s_load_b32 s70, s[2:3], 0xc
	s_load_b64 s[26:27], s[0:1], 0x70
	v_bfe_u32 v5, v0, 10, 10
	s_mov_b32 s50, 0x55555555
	s_mov_b32 s51, 0x3fd55555
	;; [unrolled: 1-line block ×4, first 2 shown]
	v_and_b32_e32 v0, 0x3ff, v0
                                        ; implicit-def: $vgpr71
	s_waitcnt lgkmcnt(0)
	v_cvt_f32_f64_e32 v3, s[16:17]
	s_bitcmp1_b32 s28, 0
	s_clause 0x3
	s_load_b128 s[20:23], s[0:1], 0x18
	s_load_b256 s[4:11], s[0:1], 0x50
	s_load_b64 s[16:17], s[0:1], 0xac
	s_load_b32 s3, s[0:1], 0xb4
	s_cselect_b32 s72, -1, 0
	s_add_u32 s28, s0, 0xa8
	s_addc_u32 s29, s1, 0
	s_abs_i32 s81, s70
	s_abs_i32 s83, s33
	v_cvt_f32_u32_e32 v8, s81
	s_abs_i32 s82, s12
	s_sub_i32 s0, 0, s81
	v_add_f64 v[1:2], -s[18:19], 1.0
	s_mul_i32 s2, s12, s33
	s_mul_i32 s71, s12, s70
	;; [unrolled: 1-line block ×10, first 2 shown]
	s_waitcnt lgkmcnt(0)
	s_lshr_b32 s1, s3, 16
	s_sub_i32 s3, 0, s83
	s_lshl_b32 s79, s71, 3
	s_lshl_b32 s80, s71, 4
	s_mul_i32 s54, s2, 10
	s_mul_i32 s56, s74, s33
	;; [unrolled: 1-line block ×9, first 2 shown]
	s_lshl_b32 s34, s2, 1
	s_mul_i32 s36, s2, 3
	s_lshl_b32 s38, s2, 2
	v_cvt_f64_f32_e64 v[6:7], -v3
	v_add_f32_e32 v4, 0, v3
	v_cvt_f64_f32_e32 v[10:11], v3
	v_cvt_f32_u32_e32 v3, s83
	s_mul_i32 s40, s2, 5
	s_mul_i32 s42, s2, 6
	v_cvt_f64_f32_e32 v[12:13], v4
	v_rcp_iflag_f32_e32 v4, v8
	v_rcp_iflag_f32_e32 v3, v3
	v_cvt_f32_u32_e32 v8, s82
	s_mul_i32 s44, s2, 7
	s_mul_i32 s46, s2, 11
	;; [unrolled: 1-line block ×3, first 2 shown]
	s_ashr_i32 s55, s54, 31
	v_rcp_iflag_f32_e32 v8, v8
	s_ashr_i32 s57, s56, 31
	s_ashr_i32 s59, s58, 31
	s_waitcnt_depctr 0xfff
	v_dual_mul_f32 v9, 0x4f7ffffe, v4 :: v_dual_mul_f32 v14, 0x4f7ffffe, v3
	s_ashr_i32 s61, s60, 31
	s_ashr_i32 s67, s66, 31
	;; [unrolled: 1-line block ×3, first 2 shown]
	s_delay_alu instid0(VALU_DEP_1)
	v_cvt_u32_f32_e32 v15, v9
	v_cvt_u32_f32_e32 v14, v14
	s_ashr_i32 s65, s64, 31
	s_ashr_i32 s69, s68, 31
	;; [unrolled: 1-line block ×11, first 2 shown]
	v_mad_u64_u32 v[3:4], null, s14, s1, v[5:6]
	v_mul_f32_e32 v4, 0x4f7ffffe, v8
	v_mul_lo_u32 v5, s0, v15
	v_mul_lo_u32 v8, s3, v14
	s_sub_i32 s14, 0, s82
	v_mul_f64 v[12:13], v[12:13], s[52:53]
	v_cvt_u32_f32_e32 v4, v4
	v_cmp_gt_i32_e64 s0, s70, v3
	v_mul_hi_u32 v16, v15, v5
	s_delay_alu instid0(VALU_DEP_3)
	v_readfirstlane_b32 s3, v4
	v_mul_hi_u32 v17, v14, v8
	v_mul_f64 v[4:5], v[6:7], s[50:51]
	v_mul_f64 v[6:7], v[6:7], s[52:53]
	;; [unrolled: 1-line block ×4, first 2 shown]
	s_mul_i32 s31, s14, s3
	s_mul_i32 s14, s16, s1
	s_mul_hi_u32 s1, s3, s31
	v_add_nc_u32_e32 v69, v15, v16
	v_add_nc_u32_e32 v70, v14, v17
	s_add_i32 s16, s3, s1
	s_ashr_i32 s3, s2, 31
	s_ashr_i32 s31, s30, 31
	s_lshl_b64 s[50:51], s[54:55], 3
	s_lshl_b64 s[52:53], s[56:57], 3
	;; [unrolled: 1-line block ×10, first 2 shown]
                                        ; implicit-def: $vgpr14_vgpr15
	s_branch .LBB3_4
.LBB3_2:                                ;   in Loop: Header=BB3_4 Depth=1
	s_or_b32 exec_lo, exec_lo, s89
.LBB3_3:                                ;   in Loop: Header=BB3_4 Depth=1
	s_delay_alu instid0(SALU_CYCLE_1) | instskip(SKIP_1) | instid1(SALU_CYCLE_1)
	s_or_b32 exec_lo, exec_lo, s84
	s_add_i32 s15, s17, s15
	s_cmp_ge_i32 s15, s12
	s_cbranch_scc1 .LBB3_119
.LBB3_4:                                ; =>This Loop Header: Depth=1
                                        ;     Child Loop BB3_8 Depth 2
                                        ;       Child Loop BB3_12 Depth 3
	s_and_saveexec_b32 s84, s0
	s_cbranch_execz .LBB3_3
; %bb.5:                                ;   in Loop: Header=BB3_4 Depth=1
	s_load_b32 s1, s[28:29], 0xc
	s_add_i32 s2, s15, s12
	v_mov_b32_e32 v72, v3
	s_abs_i32 s3, s2
	s_add_i32 s86, s2, 1
	s_mul_hi_u32 s85, s3, s16
	s_add_i32 s87, s2, -1
	s_mul_i32 s85, s85, s82
	s_ashr_i32 s2, s2, 31
	s_sub_i32 s3, s3, s85
	s_delay_alu instid0(SALU_CYCLE_1)
	s_sub_i32 s85, s3, s82
	s_waitcnt lgkmcnt(0)
	s_and_b32 s1, s1, 0xffff
	s_cmp_ge_u32 s3, s82
	v_mad_u64_u32 v[16:17], null, s13, s1, v[0:1]
	s_cselect_b32 s3, s85, s3
	s_delay_alu instid0(SALU_CYCLE_1)
	s_sub_i32 s85, s3, s82
	s_cmp_ge_u32 s3, s82
	s_cselect_b32 s3, s85, s3
	s_abs_i32 s85, s86
	s_xor_b32 s3, s3, s2
	s_mul_hi_u32 s88, s85, s16
	s_ashr_i32 s86, s86, 31
	s_mul_i32 s88, s88, s82
	s_sub_i32 s2, s3, s2
	s_sub_i32 s85, s85, s88
	s_load_b32 s88, s[28:29], 0x0
	s_sub_i32 s3, s85, s82
	s_cmp_ge_u32 s85, s82
	s_cselect_b32 s3, s3, s85
	s_delay_alu instid0(SALU_CYCLE_1)
	s_sub_i32 s85, s3, s82
	s_cmp_ge_u32 s3, s82
	s_cselect_b32 s3, s85, s3
	s_abs_i32 s85, s87
	s_xor_b32 s3, s3, s86
	s_mul_hi_u32 s89, s85, s16
	s_ashr_i32 s90, s87, 31
	s_mul_i32 s89, s89, s82
	s_sub_i32 s87, s3, s86
	s_sub_i32 s85, s85, s89
	s_mul_i32 s87, s87, s70
	s_sub_i32 s3, s85, s82
	s_cmp_ge_u32 s85, s82
	s_mov_b32 s89, 0
	s_cselect_b32 s3, s3, s85
	s_waitcnt lgkmcnt(0)
	s_mul_i32 s85, s88, s1
	s_sub_i32 s86, s3, s82
	s_cmp_ge_u32 s3, s82
	v_cmp_gt_i32_e64 s1, s33, v16
	s_cselect_b32 s3, s86, s3
	s_mul_i32 s86, s2, s70
	s_xor_b32 s2, s3, s90
	s_add_i32 s88, s87, s78
	s_sub_i32 s90, s2, s90
	s_delay_alu instid0(SALU_CYCLE_1)
	s_mul_i32 s90, s90, s70
	s_branch .LBB3_8
.LBB3_6:                                ;   in Loop: Header=BB3_8 Depth=2
	s_or_b32 exec_lo, exec_lo, s92
.LBB3_7:                                ;   in Loop: Header=BB3_8 Depth=2
	s_delay_alu instid0(SALU_CYCLE_1) | instskip(SKIP_1) | instid1(VALU_DEP_1)
	s_or_b32 exec_lo, exec_lo, s91
	v_add_nc_u32_e32 v72, s14, v72
	v_cmp_le_i32_e32 vcc_lo, s70, v72
	s_or_b32 s89, vcc_lo, s89
	s_delay_alu instid0(SALU_CYCLE_1)
	s_and_not1_b32 exec_lo, exec_lo, s89
	s_cbranch_execz .LBB3_2
.LBB3_8:                                ;   Parent Loop BB3_4 Depth=1
                                        ; =>  This Loop Header: Depth=2
                                        ;       Child Loop BB3_12 Depth 3
	s_and_saveexec_b32 s91, s1
	s_cbranch_execz .LBB3_7
; %bb.9:                                ;   in Loop: Header=BB3_8 Depth=2
	v_add_nc_u32_e32 v17, s70, v72
	s_mov_b32 s92, 0
	v_mov_b32_e32 v88, v16
	s_delay_alu instid0(VALU_DEP_2) | instskip(NEXT) | instid1(VALU_DEP_1)
	v_sub_nc_u32_e32 v18, 0, v17
	v_max_i32_e32 v18, v17, v18
	s_delay_alu instid0(VALU_DEP_1) | instskip(NEXT) | instid1(VALU_DEP_1)
	v_mul_hi_u32 v23, v18, v69
	v_mul_lo_u32 v23, v23, s81
	s_delay_alu instid0(VALU_DEP_1) | instskip(NEXT) | instid1(VALU_DEP_1)
	v_sub_nc_u32_e32 v18, v18, v23
	v_subrev_nc_u32_e32 v23, s81, v18
	v_cmp_le_u32_e32 vcc_lo, s81, v18
	s_delay_alu instid0(VALU_DEP_2) | instskip(SKIP_1) | instid1(VALU_DEP_1)
	v_cndmask_b32_e32 v18, v18, v23, vcc_lo
	v_add_nc_u32_e32 v20, -1, v17
	v_sub_nc_u32_e32 v22, 0, v20
	s_delay_alu instid0(VALU_DEP_1) | instskip(NEXT) | instid1(VALU_DEP_1)
	v_max_i32_e32 v22, v20, v22
	v_mul_hi_u32 v25, v22, v69
	s_delay_alu instid0(VALU_DEP_1) | instskip(NEXT) | instid1(VALU_DEP_1)
	v_mul_lo_u32 v25, v25, s81
	v_sub_nc_u32_e32 v22, v22, v25
	v_add_nc_u32_e32 v19, 1, v17
	v_subrev_nc_u32_e32 v25, s81, v18
	v_ashrrev_i32_e32 v17, 31, v17
	s_delay_alu instid0(VALU_DEP_3) | instskip(NEXT) | instid1(VALU_DEP_1)
	v_sub_nc_u32_e32 v21, 0, v19
	v_max_i32_e32 v21, v19, v21
	s_delay_alu instid0(VALU_DEP_1) | instskip(NEXT) | instid1(VALU_DEP_1)
	v_mul_hi_u32 v24, v21, v69
	v_mul_lo_u32 v24, v24, s81
	s_delay_alu instid0(VALU_DEP_1) | instskip(SKIP_1) | instid1(VALU_DEP_2)
	v_sub_nc_u32_e32 v21, v21, v24
	v_subrev_nc_u32_e32 v24, s81, v22
	v_subrev_nc_u32_e32 v23, s81, v21
	v_cmp_le_u32_e32 vcc_lo, s81, v21
	s_delay_alu instid0(VALU_DEP_2) | instskip(SKIP_2) | instid1(VALU_DEP_3)
	v_cndmask_b32_e32 v21, v21, v23, vcc_lo
	v_cmp_le_u32_e32 vcc_lo, s81, v22
	v_ashrrev_i32_e32 v20, 31, v20
	v_subrev_nc_u32_e32 v23, s81, v21
	v_cndmask_b32_e32 v22, v22, v24, vcc_lo
	v_cmp_le_u32_e32 vcc_lo, s81, v18
	v_ashrrev_i32_e32 v19, 31, v19
	s_delay_alu instid0(VALU_DEP_3) | instskip(SKIP_3) | instid1(VALU_DEP_3)
	v_subrev_nc_u32_e32 v24, s81, v22
	v_cndmask_b32_e32 v18, v18, v25, vcc_lo
	v_cmp_le_u32_e32 vcc_lo, s81, v21
	v_cndmask_b32_e32 v21, v21, v23, vcc_lo
	v_xor_b32_e32 v18, v18, v17
	v_cmp_le_u32_e32 vcc_lo, s81, v22
	s_delay_alu instid0(VALU_DEP_2) | instskip(SKIP_2) | instid1(VALU_DEP_1)
	v_sub_nc_u32_e32 v17, v18, v17
	v_cndmask_b32_e32 v22, v22, v24, vcc_lo
	v_xor_b32_e32 v18, v21, v19
	v_sub_nc_u32_e32 v18, v18, v19
	s_delay_alu instid0(VALU_DEP_4) | instskip(NEXT) | instid1(VALU_DEP_4)
	v_add_nc_u32_e32 v19, s87, v17
	v_xor_b32_e32 v21, v22, v20
	v_add_nc_u32_e32 v22, s86, v17
	v_add_nc_u32_e32 v17, s90, v17
	s_delay_alu instid0(VALU_DEP_4) | instskip(NEXT) | instid1(VALU_DEP_4)
	v_mul_lo_u32 v74, v19, s33
	v_sub_nc_u32_e32 v20, v21, v20
	s_delay_alu instid0(VALU_DEP_4)
	v_mul_lo_u32 v73, v22, s33
	v_add_nc_u32_e32 v21, s71, v22
	v_add_nc_u32_e32 v22, s86, v18
	;; [unrolled: 1-line block ×4, first 2 shown]
	v_mul_lo_u32 v75, v17, s33
	v_add_nc_u32_e32 v17, s76, v17
	v_add_nc_u32_e32 v19, s80, v19
	v_add3_u32 v24, s90, s77, v20
	v_add_nc_u32_e32 v20, s88, v20
	v_mul_lo_u32 v76, v21, s33
	v_add_nc_u32_e32 v21, s73, v21
	v_mul_lo_u32 v77, v22, s33
	v_mul_lo_u32 v78, v23, s33
	v_add_nc_u32_e32 v25, s87, v18
	v_add3_u32 v18, s90, s71, v18
	v_add_nc_u32_e32 v23, s74, v23
	v_add_nc_u32_e32 v22, s75, v22
	v_mul_lo_u32 v79, v17, s33
	v_mul_lo_u32 v80, v19, s33
	;; [unrolled: 1-line block ×9, first 2 shown]
	s_branch .LBB3_12
.LBB3_10:                               ;   in Loop: Header=BB3_12 Depth=3
	s_or_b32 exec_lo, exec_lo, s2
	v_add_co_u32 v35, vcc_lo, s6, v35
	v_add3_u32 v17, s30, s30, v17
	v_add_co_ci_u32_e32 v36, vcc_lo, s7, v36, vcc_lo
	s_lshl_b64 s[2:3], s[30:31], 3
	s_delay_alu instid0(VALU_DEP_3) | instid1(SALU_CYCLE_1)
	v_add_co_u32 v61, vcc_lo, v35, s2
	s_delay_alu instid0(VALU_DEP_3) | instskip(NEXT) | instid1(VALU_DEP_3)
	v_add_nc_u32_e32 v59, s30, v17
	v_add_co_ci_u32_e32 v62, vcc_lo, s3, v36, vcc_lo
	v_ashrrev_i32_e32 v18, 31, v17
	s_clause 0x1
	global_store_b64 v[35:36], v[41:42], off
	global_store_b64 v[61:62], v[49:50], off
	v_ashrrev_i32_e32 v60, 31, v59
	v_add_nc_u32_e32 v41, s30, v59
	v_lshlrev_b64 v[17:18], 3, v[17:18]
	s_delay_alu instid0(VALU_DEP_3) | instskip(NEXT) | instid1(VALU_DEP_3)
	v_lshlrev_b64 v[35:36], 3, v[59:60]
	v_add_nc_u32_e32 v49, s30, v41
	v_ashrrev_i32_e32 v42, 31, v41
	s_delay_alu instid0(VALU_DEP_4) | instskip(SKIP_1) | instid1(VALU_DEP_4)
	v_add_co_u32 v17, vcc_lo, s6, v17
	v_add_co_ci_u32_e32 v18, vcc_lo, s7, v18, vcc_lo
	v_add_nc_u32_e32 v59, s30, v49
	v_add_co_u32 v35, vcc_lo, s6, v35
	v_ashrrev_i32_e32 v50, 31, v49
	v_lshlrev_b64 v[41:42], 3, v[41:42]
	v_add_co_ci_u32_e32 v36, vcc_lo, s7, v36, vcc_lo
	v_ashrrev_i32_e32 v60, 31, v59
	s_clause 0x1
	global_store_b64 v[17:18], v[43:44], off
	global_store_b64 v[35:36], v[45:46], off
	v_lshlrev_b64 v[17:18], 3, v[49:50]
	v_add_nc_u32_e32 v43, s30, v59
	v_add_co_u32 v35, vcc_lo, s6, v41
	v_add_co_ci_u32_e32 v36, vcc_lo, s7, v42, vcc_lo
	v_lshlrev_b64 v[41:42], 3, v[59:60]
	s_delay_alu instid0(VALU_DEP_4)
	v_add_nc_u32_e32 v45, s30, v43
	v_add_co_u32 v17, vcc_lo, s6, v17
	v_ashrrev_i32_e32 v44, 31, v43
	v_add_co_ci_u32_e32 v18, vcc_lo, s7, v18, vcc_lo
	v_add_co_u32 v41, vcc_lo, s6, v41
	v_ashrrev_i32_e32 v46, 31, v45
	global_store_b64 v[35:36], v[27:28], off
	v_add_nc_u32_e32 v35, s30, v45
	v_add_co_ci_u32_e32 v42, vcc_lo, s7, v42, vcc_lo
	v_lshlrev_b64 v[27:28], 3, v[43:44]
	s_clause 0x1
	global_store_b64 v[17:18], v[39:40], off
	global_store_b64 v[41:42], v[37:38], off
	v_lshlrev_b64 v[17:18], 3, v[45:46]
	v_add_nc_u32_e32 v37, s30, v35
	v_ashrrev_i32_e32 v36, 31, v35
	v_add_co_u32 v27, vcc_lo, s6, v27
	v_add_co_ci_u32_e32 v28, vcc_lo, s7, v28, vcc_lo
	s_delay_alu instid0(VALU_DEP_4)
	v_add_nc_u32_e32 v39, s30, v37
	v_add_co_u32 v17, vcc_lo, s6, v17
	v_ashrrev_i32_e32 v38, 31, v37
	v_add_co_ci_u32_e32 v18, vcc_lo, s7, v18, vcc_lo
	v_lshlrev_b64 v[35:36], 3, v[35:36]
	v_ashrrev_i32_e32 v40, 31, v39
	s_clause 0x1
	global_store_b64 v[27:28], v[21:22], off
	global_store_b64 v[17:18], v[19:20], off
	v_lshlrev_b64 v[17:18], 3, v[37:38]
	v_add_nc_u32_e32 v27, s30, v39
	v_add_co_u32 v19, vcc_lo, s6, v35
	v_lshlrev_b64 v[21:22], 3, v[39:40]
	v_add_co_ci_u32_e32 v20, vcc_lo, s7, v36, vcc_lo
	v_add_co_u32 v17, vcc_lo, s6, v17
	v_add_co_ci_u32_e32 v18, vcc_lo, s7, v18, vcc_lo
	s_delay_alu instid0(VALU_DEP_4)
	v_add_co_u32 v21, vcc_lo, s6, v21
	v_add_nc_u32_e32 v35, s30, v27
	v_add_co_ci_u32_e32 v22, vcc_lo, s7, v22, vcc_lo
	v_ashrrev_i32_e32 v28, 31, v27
	s_clause 0x2
	global_store_b64 v[19:20], v[33:34], off
	global_store_b64 v[17:18], v[29:30], off
	;; [unrolled: 1-line block ×3, first 2 shown]
	v_add_nc_u32_e32 v21, s30, v35
	v_ashrrev_i32_e32 v36, 31, v35
	v_lshlrev_b64 v[19:20], 3, v[27:28]
	s_delay_alu instid0(VALU_DEP_3) | instskip(NEXT) | instid1(VALU_DEP_3)
	v_add_nc_u32_e32 v27, s30, v21
	v_lshlrev_b64 v[17:18], 3, v[35:36]
	v_ashrrev_i32_e32 v22, 31, v21
	s_delay_alu instid0(VALU_DEP_4)
	v_add_co_u32 v19, vcc_lo, s6, v19
	v_add_co_ci_u32_e32 v20, vcc_lo, s7, v20, vcc_lo
	v_add_nc_u32_e32 v29, s30, v27
	v_add_co_u32 v17, vcc_lo, s6, v17
	v_add_co_ci_u32_e32 v18, vcc_lo, s7, v18, vcc_lo
	v_ashrrev_i32_e32 v28, 31, v27
	global_store_b64 v[19:20], v[51:52], off
	v_lshlrev_b64 v[19:20], 3, v[21:22]
	v_ashrrev_i32_e32 v30, 31, v29
	v_add_nc_u32_e32 v21, s30, v29
	global_store_b64 v[17:18], v[47:48], off
	v_lshlrev_b64 v[17:18], 3, v[27:28]
	v_lshlrev_b64 v[27:28], 3, v[29:30]
	v_add_nc_u32_e32 v29, s30, v21
	v_ashrrev_i32_e32 v22, 31, v21
	v_add_co_u32 v19, vcc_lo, s6, v19
	v_add_co_ci_u32_e32 v20, vcc_lo, s7, v20, vcc_lo
	s_delay_alu instid0(VALU_DEP_4)
	v_ashrrev_i32_e32 v30, 31, v29
	v_add_co_u32 v17, vcc_lo, s6, v17
	v_lshlrev_b64 v[21:22], 3, v[21:22]
	v_add_co_ci_u32_e32 v18, vcc_lo, s7, v18, vcc_lo
	v_add_co_u32 v27, vcc_lo, s6, v27
	v_lshlrev_b64 v[29:30], 3, v[29:30]
	v_add_co_ci_u32_e32 v28, vcc_lo, s7, v28, vcc_lo
	v_add_co_u32 v21, vcc_lo, s6, v21
	v_add_co_ci_u32_e32 v22, vcc_lo, s7, v22, vcc_lo
	s_delay_alu instid0(VALU_DEP_4)
	v_add_co_u32 v29, vcc_lo, s6, v29
	v_add_co_ci_u32_e32 v30, vcc_lo, s7, v30, vcc_lo
	s_clause 0x4
	global_store_b64 v[19:20], v[57:58], off
	global_store_b64 v[17:18], v[53:54], off
	;; [unrolled: 1-line block ×5, first 2 shown]
.LBB3_11:                               ;   in Loop: Header=BB3_12 Depth=3
	s_or_b32 exec_lo, exec_lo, s93
	v_add_nc_u32_e32 v88, s85, v88
	s_delay_alu instid0(VALU_DEP_1) | instskip(SKIP_1) | instid1(SALU_CYCLE_1)
	v_cmp_le_i32_e32 vcc_lo, s33, v88
	s_or_b32 s92, vcc_lo, s92
	s_and_not1_b32 exec_lo, exec_lo, s92
	s_cbranch_execz .LBB3_6
.LBB3_12:                               ;   Parent Loop BB3_4 Depth=1
                                        ;     Parent Loop BB3_8 Depth=2
                                        ; =>    This Inner Loop Header: Depth=3
	v_add_nc_u32_e32 v19, s33, v88
	s_mov_b32 s2, 0
	s_mov_b32 s3, exec_lo
	s_delay_alu instid0(VALU_DEP_1) | instskip(SKIP_1) | instid1(VALU_DEP_2)
	v_sub_nc_u32_e32 v17, 0, v19
	v_ashrrev_i32_e32 v20, 31, v19
	v_max_i32_e32 v17, v19, v17
	s_delay_alu instid0(VALU_DEP_1) | instskip(NEXT) | instid1(VALU_DEP_1)
	v_mul_hi_u32 v18, v17, v70
	v_mul_lo_u32 v18, v18, s83
	s_delay_alu instid0(VALU_DEP_1) | instskip(NEXT) | instid1(VALU_DEP_1)
	v_sub_nc_u32_e32 v17, v17, v18
	v_subrev_nc_u32_e32 v18, s83, v17
	v_cmp_le_u32_e32 vcc_lo, s83, v17
	s_delay_alu instid0(VALU_DEP_2) | instskip(NEXT) | instid1(VALU_DEP_1)
	v_cndmask_b32_e32 v17, v17, v18, vcc_lo
	v_subrev_nc_u32_e32 v18, s83, v17
	v_cmp_le_u32_e32 vcc_lo, s83, v17
	s_delay_alu instid0(VALU_DEP_2) | instskip(NEXT) | instid1(VALU_DEP_1)
	v_cndmask_b32_e32 v17, v17, v18, vcc_lo
	v_xor_b32_e32 v17, v17, v20
	s_delay_alu instid0(VALU_DEP_1) | instskip(NEXT) | instid1(VALU_DEP_1)
	v_sub_nc_u32_e32 v23, v17, v20
	v_add_nc_u32_e32 v17, v73, v23
	s_delay_alu instid0(VALU_DEP_1) | instskip(SKIP_1) | instid1(VALU_DEP_2)
	v_ashrrev_i32_e32 v18, 31, v17
	v_add_co_u32 v20, vcc_lo, s8, v17
	v_add_co_ci_u32_e32 v21, vcc_lo, s9, v18, vcc_lo
	global_load_u8 v59, v[20:21], off
	s_waitcnt vmcnt(0)
	v_cmpx_lt_i16_e32 9, v59
	s_xor_b32 s3, exec_lo, s3
	s_cbranch_execnz .LBB3_15
; %bb.13:                               ;   in Loop: Header=BB3_12 Depth=3
	s_and_not1_saveexec_b32 s3, s3
	s_cbranch_execnz .LBB3_16
.LBB3_14:                               ;   in Loop: Header=BB3_12 Depth=3
	s_or_b32 exec_lo, exec_lo, s3
	s_and_saveexec_b32 s93, s2
	s_cbranch_execz .LBB3_11
	s_branch .LBB3_17
.LBB3_15:                               ;   in Loop: Header=BB3_12 Depth=3
	v_cmp_ne_u16_e32 vcc_lo, 10, v59
	s_and_b32 s2, vcc_lo, exec_lo
	s_and_not1_saveexec_b32 s3, s3
	s_cbranch_execz .LBB3_14
.LBB3_16:                               ;   in Loop: Header=BB3_12 Depth=3
	v_cmp_ne_u16_e32 vcc_lo, 4, v59
	s_and_not1_b32 s2, s2, exec_lo
	s_and_b32 s93, vcc_lo, exec_lo
	s_delay_alu instid0(SALU_CYCLE_1)
	s_or_b32 s2, s2, s93
	s_or_b32 exec_lo, exec_lo, s3
	s_and_saveexec_b32 s93, s2
	s_cbranch_execz .LBB3_11
.LBB3_17:                               ;   in Loop: Header=BB3_12 Depth=3
	v_add_nc_u32_e32 v22, 1, v19
	v_not_b32_e32 v20, v19
	v_add_nc_u32_e32 v26, -1, v19
	v_sub_nc_u32_e32 v19, 1, v19
	v_lshlrev_b64 v[35:36], 3, v[17:18]
	v_ashrrev_i32_e32 v32, 31, v22
	v_max_i32_e32 v21, v22, v20
	v_ashrrev_i32_e32 v34, 31, v26
	v_max_i32_e32 v27, v26, v19
	v_add_co_u32 v19, vcc_lo, s26, v17
	s_delay_alu instid0(VALU_DEP_4) | instskip(SKIP_1) | instid1(VALU_DEP_4)
	v_mul_hi_u32 v20, v21, v70
	v_add3_u32 v47, v23, s46, v78
	v_mul_hi_u32 v25, v27, v70
	v_add_nc_u32_e32 v63, v87, v23
	v_bfe_i32 v89, v59, 0, 8
	v_lshlrev_b64 v[59:60], 2, v[17:18]
	v_ashrrev_i32_e32 v48, 31, v47
	s_mov_b32 s2, exec_lo
	v_mul_lo_u32 v24, v20, s83
	v_add_co_ci_u32_e32 v20, vcc_lo, s27, v18, vcc_lo
	v_mul_lo_u32 v31, v25, s83
	v_ashrrev_i32_e32 v64, 31, v63
	global_load_u8 v90, v[19:20], off
	v_sub_nc_u32_e32 v28, v21, v24
	v_add3_u32 v21, v23, s34, v77
	v_add3_u32 v24, v23, s36, v74
	v_sub_nc_u32_e32 v26, v27, v31
	s_delay_alu instid0(VALU_DEP_4)
	v_subrev_nc_u32_e32 v30, s83, v28
	v_cmp_le_u32_e32 vcc_lo, s83, v28
	v_add_nc_u32_e32 v29, v83, v23
	v_ashrrev_i32_e32 v22, 31, v21
	v_ashrrev_i32_e32 v25, 31, v24
	v_cndmask_b32_e32 v28, v28, v30, vcc_lo
	v_add_co_u32 v61, vcc_lo, s4, v35
	v_add_co_ci_u32_e32 v62, vcc_lo, s5, v36, vcc_lo
	s_delay_alu instid0(VALU_DEP_3)
	v_subrev_nc_u32_e32 v27, s83, v28
	v_cmp_le_u32_e32 vcc_lo, s83, v28
	v_lshlrev_b64 v[19:20], 3, v[21:22]
	v_subrev_nc_u32_e32 v30, s83, v26
	v_lshlrev_b64 v[21:22], 3, v[24:25]
	global_load_b64 v[41:42], v[61:62], off
	v_cndmask_b32_e32 v27, v28, v27, vcc_lo
	v_cmp_le_u32_e32 vcc_lo, s83, v26
	s_delay_alu instid0(VALU_DEP_2) | instskip(SKIP_3) | instid1(VALU_DEP_4)
	v_xor_b32_e32 v24, v27, v32
	v_cndmask_b32_e32 v25, v26, v30, vcc_lo
	v_add_co_u32 v19, vcc_lo, s4, v19
	v_add_co_ci_u32_e32 v20, vcc_lo, s5, v20, vcc_lo
	v_sub_nc_u32_e32 v27, v24, v32
	v_add_co_u32 v21, vcc_lo, s4, v21
	v_add_co_ci_u32_e32 v22, vcc_lo, s5, v22, vcc_lo
	v_subrev_nc_u32_e32 v26, s83, v25
	v_cmp_le_u32_e32 vcc_lo, s83, v25
	v_add_nc_u32_e32 v24, v27, v76
	v_add3_u32 v30, v27, s40, v78
	v_add3_u32 v32, v27, s42, v74
	v_add3_u32 v37, v27, s44, v75
	v_cndmask_b32_e32 v39, v25, v26, vcc_lo
	v_add3_u32 v26, v27, s38, v77
	v_ashrrev_i32_e32 v25, 31, v24
	v_ashrrev_i32_e32 v31, 31, v30
	;; [unrolled: 1-line block ×5, first 2 shown]
	v_lshlrev_b64 v[24:25], 3, v[24:25]
	v_lshlrev_b64 v[30:31], 3, v[30:31]
	;; [unrolled: 1-line block ×3, first 2 shown]
	s_delay_alu instid0(VALU_DEP_4) | instskip(NEXT) | instid1(VALU_DEP_4)
	v_lshlrev_b64 v[26:27], 3, v[26:27]
	v_add_co_u32 v24, vcc_lo, s4, v24
	v_add_co_ci_u32_e32 v25, vcc_lo, s5, v25, vcc_lo
	s_delay_alu instid0(VALU_DEP_3) | instskip(NEXT) | instid1(VALU_DEP_4)
	v_add_co_u32 v26, vcc_lo, s4, v26
	v_add_co_ci_u32_e32 v27, vcc_lo, s5, v27, vcc_lo
	s_clause 0x3
	global_load_b64 v[49:50], v[24:25], off
	global_load_b64 v[43:44], v[19:20], off
	;; [unrolled: 1-line block ×4, first 2 shown]
	v_xor_b32_e32 v26, v39, v34
	v_add_co_u32 v19, vcc_lo, s4, v30
	v_ashrrev_i32_e32 v30, 31, v29
	v_lshlrev_b64 v[21:22], 3, v[37:38]
	v_add_co_ci_u32_e32 v20, vcc_lo, s5, v31, vcc_lo
	v_sub_nc_u32_e32 v26, v26, v34
	v_add_co_u32 v24, vcc_lo, s4, v32
	v_lshlrev_b64 v[29:30], 3, v[29:30]
	v_add_nc_u32_e32 v31, v84, v23
	v_add_co_ci_u32_e32 v25, vcc_lo, s5, v33, vcc_lo
	v_add_co_u32 v21, vcc_lo, s4, v21
	v_add_nc_u32_e32 v33, v26, v82
	v_add_co_ci_u32_e32 v22, vcc_lo, s5, v22, vcc_lo
	v_ashrrev_i32_e32 v32, 31, v31
	v_add_co_u32 v29, vcc_lo, s4, v29
	v_add_co_ci_u32_e32 v30, vcc_lo, s5, v30, vcc_lo
	v_ashrrev_i32_e32 v34, 31, v33
	s_clause 0x3
	global_load_b64 v[39:40], v[19:20], off
	global_load_b64 v[37:38], v[24:25], off
	;; [unrolled: 1-line block ×4, first 2 shown]
	v_add3_u32 v29, v23, s48, v75
	v_lshlrev_b64 v[31:32], 3, v[31:32]
	v_add_nc_u32_e32 v53, v26, v86
	v_lshlrev_b64 v[24:25], 3, v[33:34]
	v_lshlrev_b64 v[33:34], 3, v[47:48]
	v_ashrrev_i32_e32 v30, 31, v29
	v_add_nc_u32_e32 v47, v26, v85
	v_add_co_u32 v31, vcc_lo, s4, v31
	v_add_co_ci_u32_e32 v32, vcc_lo, s5, v32, vcc_lo
	v_add_co_u32 v24, vcc_lo, s4, v24
	v_lshlrev_b64 v[29:30], 3, v[29:30]
	v_add_co_ci_u32_e32 v25, vcc_lo, s5, v25, vcc_lo
	v_add_co_u32 v51, vcc_lo, s4, v33
	v_add_co_ci_u32_e32 v52, vcc_lo, s5, v34, vcc_lo
	v_ashrrev_i32_e32 v54, 31, v53
	v_add_nc_u32_e32 v57, v26, v79
	v_ashrrev_i32_e32 v48, 31, v47
	v_add_co_u32 v55, vcc_lo, s4, v29
	v_add_co_ci_u32_e32 v56, vcc_lo, s5, v30, vcc_lo
	s_clause 0x3
	global_load_b64 v[33:34], v[31:32], off
	global_load_b64 v[29:30], v[24:25], off
	global_load_b64 v[31:32], v[51:52], off
	global_load_b64 v[51:52], v[55:56], off
	v_lshlrev_b64 v[24:25], 3, v[53:54]
	v_ashrrev_i32_e32 v58, 31, v57
	v_add_nc_u32_e32 v53, v26, v80
	v_lshlrev_b64 v[47:48], 3, v[47:48]
	s_delay_alu instid0(VALU_DEP_3) | instskip(NEXT) | instid1(VALU_DEP_3)
	v_lshlrev_b64 v[55:56], 3, v[57:58]
	v_ashrrev_i32_e32 v54, 31, v53
	v_add_nc_u32_e32 v57, v81, v23
	s_delay_alu instid0(VALU_DEP_4)
	v_add_co_u32 v47, vcc_lo, s4, v47
	v_add_co_ci_u32_e32 v48, vcc_lo, s5, v48, vcc_lo
	v_add_co_u32 v24, vcc_lo, s4, v24
	v_lshlrev_b64 v[53:54], 3, v[53:54]
	v_ashrrev_i32_e32 v58, 31, v57
	v_add_co_ci_u32_e32 v25, vcc_lo, s5, v25, vcc_lo
	v_add_co_u32 v55, vcc_lo, s4, v55
	v_add_co_ci_u32_e32 v56, vcc_lo, s5, v56, vcc_lo
	s_delay_alu instid0(VALU_DEP_4) | instskip(SKIP_3) | instid1(VALU_DEP_4)
	v_lshlrev_b64 v[57:58], 3, v[57:58]
	v_add_co_u32 v65, vcc_lo, s4, v53
	v_add_co_ci_u32_e32 v66, vcc_lo, s5, v54, vcc_lo
	v_lshlrev_b64 v[53:54], 3, v[63:64]
	v_add_co_u32 v63, vcc_lo, s4, v57
	v_add_co_ci_u32_e32 v64, vcc_lo, s5, v58, vcc_lo
	s_delay_alu instid0(VALU_DEP_3) | instskip(NEXT) | instid1(VALU_DEP_4)
	v_add_co_u32 v67, vcc_lo, s4, v53
	v_add_co_ci_u32_e32 v68, vcc_lo, s5, v54, vcc_lo
	s_clause 0x5
	global_load_b64 v[47:48], v[47:48], off
	global_load_b64 v[57:58], v[24:25], off
	;; [unrolled: 1-line block ×6, first 2 shown]
	v_and_b32_e32 v63, -2, v89
	s_delay_alu instid0(VALU_DEP_1)
	v_cmpx_eq_u16_e32 2, v63
	s_cbranch_execz .LBB3_55
; %bb.18:                               ;   in Loop: Header=BB3_12 Depth=3
	v_add_co_u32 v63, vcc_lo, s10, v59
	v_add_co_ci_u32_e32 v64, vcc_lo, s11, v60, vcc_lo
	s_mov_b32 s3, exec_lo
	global_load_b32 v18, v[63:64], off
	s_waitcnt vmcnt(0)
	v_and_b32_e32 v63, 2, v18
	s_delay_alu instid0(VALU_DEP_1)
	v_cmpx_ne_u32_e32 0, v63
	s_cbranch_execz .LBB3_20
; %bb.19:                               ;   in Loop: Header=BB3_12 Depth=3
	v_add_co_u32 v49, vcc_lo, v61, s50
	v_add_co_ci_u32_e32 v50, vcc_lo, s51, v62, vcc_lo
	global_load_b64 v[49:50], v[49:50], off
.LBB3_20:                               ;   in Loop: Header=BB3_12 Depth=3
	s_or_b32 exec_lo, exec_lo, s3
	v_and_b32_e32 v63, 4, v18
	s_mov_b32 s3, exec_lo
	s_delay_alu instid0(VALU_DEP_1)
	v_cmpx_ne_u32_e32 0, v63
	s_cbranch_execz .LBB3_22
; %bb.21:                               ;   in Loop: Header=BB3_12 Depth=3
	s_lshl_b64 s[94:95], s[46:47], 3
	s_delay_alu instid0(SALU_CYCLE_1)
	v_add_co_u32 v43, vcc_lo, v61, s94
	v_add_co_ci_u32_e32 v44, vcc_lo, s95, v62, vcc_lo
	global_load_b64 v[43:44], v[43:44], off
.LBB3_22:                               ;   in Loop: Header=BB3_12 Depth=3
	s_or_b32 exec_lo, exec_lo, s3
	v_and_b32_e32 v63, 8, v18
	s_mov_b32 s3, exec_lo
	s_delay_alu instid0(VALU_DEP_1)
	v_cmpx_ne_u32_e32 0, v63
	s_cbranch_execz .LBB3_24
; %bb.23:                               ;   in Loop: Header=BB3_12 Depth=3
	s_lshl_b64 s[94:95], s[48:49], 3
	s_delay_alu instid0(SALU_CYCLE_1)
	v_add_co_u32 v45, vcc_lo, v61, s94
	v_add_co_ci_u32_e32 v46, vcc_lo, s95, v62, vcc_lo
	global_load_b64 v[45:46], v[45:46], off
.LBB3_24:                               ;   in Loop: Header=BB3_12 Depth=3
	s_or_b32 exec_lo, exec_lo, s3
	v_and_b32_e32 v63, 16, v18
	s_mov_b32 s3, exec_lo
	s_delay_alu instid0(VALU_DEP_1)
	v_cmpx_ne_u32_e32 0, v63
	s_cbranch_execz .LBB3_26
; %bb.25:                               ;   in Loop: Header=BB3_12 Depth=3
	v_add_co_u32 v27, vcc_lo, v61, s52
	v_add_co_ci_u32_e32 v28, vcc_lo, s53, v62, vcc_lo
	global_load_b64 v[27:28], v[27:28], off
.LBB3_26:                               ;   in Loop: Header=BB3_12 Depth=3
	s_or_b32 exec_lo, exec_lo, s3
	v_and_b32_e32 v63, 32, v18
	s_mov_b32 s3, exec_lo
	s_delay_alu instid0(VALU_DEP_1)
	v_cmpx_ne_u32_e32 0, v63
	s_cbranch_execz .LBB3_28
; %bb.27:                               ;   in Loop: Header=BB3_12 Depth=3
	v_add_co_u32 v39, vcc_lo, v61, s54
	v_add_co_ci_u32_e32 v40, vcc_lo, s55, v62, vcc_lo
	global_load_b64 v[39:40], v[39:40], off
.LBB3_28:                               ;   in Loop: Header=BB3_12 Depth=3
	;; [unrolled: 11-line block ×7, first 2 shown]
	s_or_b32 exec_lo, exec_lo, s3
	v_and_b32_e32 v63, 0x800, v18
	s_mov_b32 s3, exec_lo
	s_delay_alu instid0(VALU_DEP_1)
	v_cmpx_ne_u32_e32 0, v63
	s_cbranch_execz .LBB3_40
; %bb.39:                               ;   in Loop: Header=BB3_12 Depth=3
	s_lshl_b64 s[94:95], s[34:35], 3
	s_delay_alu instid0(SALU_CYCLE_1)
	v_add_co_u32 v31, vcc_lo, v61, s94
	v_add_co_ci_u32_e32 v32, vcc_lo, s95, v62, vcc_lo
	global_load_b64 v[31:32], v[31:32], off
.LBB3_40:                               ;   in Loop: Header=BB3_12 Depth=3
	s_or_b32 exec_lo, exec_lo, s3
	v_and_b32_e32 v63, 0x1000, v18
	s_mov_b32 s3, exec_lo
	s_delay_alu instid0(VALU_DEP_1)
	v_cmpx_ne_u32_e32 0, v63
	s_cbranch_execz .LBB3_42
; %bb.41:                               ;   in Loop: Header=BB3_12 Depth=3
	s_lshl_b64 s[94:95], s[36:37], 3
	s_delay_alu instid0(SALU_CYCLE_1)
	v_add_co_u32 v51, vcc_lo, v61, s94
	v_add_co_ci_u32_e32 v52, vcc_lo, s95, v62, vcc_lo
	global_load_b64 v[51:52], v[51:52], off
.LBB3_42:                               ;   in Loop: Header=BB3_12 Depth=3
	;; [unrolled: 13-line block ×6, first 2 shown]
	s_or_b32 exec_lo, exec_lo, s3
	v_and_b32_e32 v63, 0x20000, v18
	s_mov_b32 s3, exec_lo
	s_delay_alu instid0(VALU_DEP_1)
	v_cmpx_ne_u32_e32 0, v63
	s_cbranch_execz .LBB3_52
; %bb.51:                               ;   in Loop: Header=BB3_12 Depth=3
	v_add_co_u32 v55, vcc_lo, v61, s66
	v_add_co_ci_u32_e32 v56, vcc_lo, s67, v62, vcc_lo
	global_load_b64 v[55:56], v[55:56], off
.LBB3_52:                               ;   in Loop: Header=BB3_12 Depth=3
	s_or_b32 exec_lo, exec_lo, s3
	v_and_b32_e32 v18, 0x40000, v18
	s_mov_b32 s3, exec_lo
	s_delay_alu instid0(VALU_DEP_1)
	v_cmpx_ne_u32_e32 0, v18
	s_cbranch_execz .LBB3_54
; %bb.53:                               ;   in Loop: Header=BB3_12 Depth=3
	v_add_co_u32 v23, vcc_lo, v61, s68
	v_add_co_ci_u32_e32 v24, vcc_lo, s69, v62, vcc_lo
	global_load_b64 v[23:24], v[23:24], off
.LBB3_54:                               ;   in Loop: Header=BB3_12 Depth=3
	s_or_b32 exec_lo, exec_lo, s3
.LBB3_55:                               ;   in Loop: Header=BB3_12 Depth=3
	s_delay_alu instid0(SALU_CYCLE_1) | instskip(NEXT) | instid1(SALU_CYCLE_1)
	s_or_b32 exec_lo, exec_lo, s2
	s_mov_b32 s94, exec_lo
	v_cmpx_eq_u16_e32 2, v89
	s_cbranch_execz .LBB3_76
; %bb.56:                               ;   in Loop: Header=BB3_12 Depth=3
	s_waitcnt vmcnt(19)
	v_and_b32_e32 v18, 0xff, v90
	s_mov_b32 s2, 0
	s_mov_b32 s3, exec_lo
	s_delay_alu instid0(VALU_DEP_1)
	v_cmpx_lt_i16_e32 2, v18
	s_xor_b32 s3, exec_lo, s3
	s_cbranch_execnz .LBB3_80
; %bb.57:                               ;   in Loop: Header=BB3_12 Depth=3
	s_and_not1_saveexec_b32 s3, s3
	s_cbranch_execnz .LBB3_81
.LBB3_58:                               ;   in Loop: Header=BB3_12 Depth=3
	s_or_b32 exec_lo, exec_lo, s3
	s_and_saveexec_b32 s3, s2
	s_cbranch_execz .LBB3_60
.LBB3_59:                               ;   in Loop: Header=BB3_12 Depth=3
	s_waitcnt vmcnt(0)
	v_add_f64 v[27:28], v[6:7], v[27:28]
.LBB3_60:                               ;   in Loop: Header=BB3_12 Depth=3
	s_or_b32 exec_lo, exec_lo, s3
	s_mov_b32 s95, 0
	s_mov_b32 s2, 0
	s_mov_b32 s3, exec_lo
	v_cmpx_lt_i16_e32 3, v18
	s_xor_b32 s3, exec_lo, s3
	s_cbranch_execnz .LBB3_84
; %bb.61:                               ;   in Loop: Header=BB3_12 Depth=3
	s_and_not1_saveexec_b32 s3, s3
	s_cbranch_execnz .LBB3_87
.LBB3_62:                               ;   in Loop: Header=BB3_12 Depth=3
	s_or_b32 exec_lo, exec_lo, s3
	s_and_saveexec_b32 s3, s95
	s_cbranch_execnz .LBB3_88
.LBB3_63:                               ;   in Loop: Header=BB3_12 Depth=3
	s_or_b32 exec_lo, exec_lo, s3
	s_and_saveexec_b32 s3, s2
	s_cbranch_execz .LBB3_65
.LBB3_64:                               ;   in Loop: Header=BB3_12 Depth=3
	s_waitcnt vmcnt(0)
	v_add_f64 v[21:22], v[6:7], v[21:22]
.LBB3_65:                               ;   in Loop: Header=BB3_12 Depth=3
	s_or_b32 exec_lo, exec_lo, s3
	s_waitcnt vmcnt(0)
	v_add_f64 v[61:62], v[33:34], 0
	v_add_f64 v[63:64], v[6:7], v[39:40]
	v_add_nc_u16 v65, v90, -3
	v_add_nc_u16 v66, v90, -1
	v_cmp_lt_i16_e64 s3, 2, v18
	s_mov_b32 s96, 0
	s_mov_b32 s97, 0
	v_and_b32_e32 v65, 0xff, v65
	s_mov_b32 s95, 0
	s_delay_alu instid0(VALU_DEP_1) | instskip(SKIP_1) | instid1(VALU_DEP_1)
	v_cmp_gt_u16_e32 vcc_lo, 2, v65
	v_dual_cndmask_b32 v33, v33, v61 :: v_dual_and_b32 v66, 0xff, v66
	v_cmp_gt_u16_e64 s2, 2, v66
	v_cndmask_b32_e32 v34, v34, v62, vcc_lo
                                        ; implicit-def: $vgpr61_vgpr62
                                        ; implicit-def: $vgpr65_vgpr66
	s_delay_alu instid0(VALU_DEP_2) | instskip(SKIP_3) | instid1(SALU_CYCLE_1)
	v_cndmask_b32_e64 v40, v40, v64, s2
	v_cndmask_b32_e64 v39, v39, v63, s2
	s_mov_b32 s2, 0
                                        ; implicit-def: $vgpr63_vgpr64
	s_and_saveexec_b32 s98, s3
	s_xor_b32 s3, exec_lo, s98
	s_cbranch_execnz .LBB3_93
; %bb.66:                               ;   in Loop: Header=BB3_12 Depth=3
	s_or_saveexec_b32 s3, s3
                                        ; implicit-def: $vgpr67_vgpr68
	s_delay_alu instid0(SALU_CYCLE_1)
	s_xor_b32 exec_lo, exec_lo, s3
	s_cbranch_execnz .LBB3_100
.LBB3_67:                               ;   in Loop: Header=BB3_12 Depth=3
	s_or_b32 exec_lo, exec_lo, s3
	s_and_saveexec_b32 s3, s97
.LBB3_68:                               ;   in Loop: Header=BB3_12 Depth=3
	v_add_f64 v[63:64], v[10:11], v[57:58]
	v_dual_mov_b32 v62, v56 :: v_dual_and_b32 v57, 0xff, v90
	v_mov_b32_e32 v61, v55
	s_and_not1_b32 s95, s95, exec_lo
                                        ; implicit-def: $vgpr67_vgpr68
	v_mov_b32_e32 v66, v52
	s_delay_alu instid0(VALU_DEP_3) | instskip(SKIP_2) | instid1(SALU_CYCLE_1)
	v_cmp_eq_u16_e32 vcc_lo, 0, v57
	v_mov_b32_e32 v65, v51
	s_and_b32 s97, vcc_lo, exec_lo
	s_or_b32 s95, s95, s97
	v_dual_mov_b32 v57, v63 :: v_dual_mov_b32 v58, v64
.LBB3_69:                               ;   in Loop: Header=BB3_12 Depth=3
	s_or_b32 exec_lo, exec_lo, s3
	s_mov_b32 s3, 0
	s_mov_b32 s97, 0
	s_and_saveexec_b32 s98, s95
	s_cbranch_execnz .LBB3_113
; %bb.70:                               ;   in Loop: Header=BB3_12 Depth=3
	s_or_b32 exec_lo, exec_lo, s98
	s_and_saveexec_b32 s95, s96
	s_cbranch_execnz .LBB3_116
.LBB3_71:                               ;   in Loop: Header=BB3_12 Depth=3
	s_or_b32 exec_lo, exec_lo, s95
	s_and_saveexec_b32 s95, s97
	s_cbranch_execnz .LBB3_117
.LBB3_72:                               ;   in Loop: Header=BB3_12 Depth=3
	s_or_b32 exec_lo, exec_lo, s95
	s_and_saveexec_b32 s95, s2
	s_cbranch_execnz .LBB3_118
.LBB3_73:                               ;   in Loop: Header=BB3_12 Depth=3
	s_or_b32 exec_lo, exec_lo, s95
	s_and_saveexec_b32 s2, s3
.LBB3_74:                               ;   in Loop: Header=BB3_12 Depth=3
	v_add_f64 v[23:24], v[23:24], 0
	v_dual_mov_b32 v63, v67 :: v_dual_mov_b32 v64, v68
.LBB3_75:                               ;   in Loop: Header=BB3_12 Depth=3
	s_or_b32 exec_lo, exec_lo, s2
	s_delay_alu instid0(VALU_DEP_4) | instskip(NEXT) | instid1(VALU_DEP_2)
	v_dual_mov_b32 v55, v61 :: v_dual_mov_b32 v56, v62
	v_dual_mov_b32 v57, v63 :: v_dual_mov_b32 v58, v64
.LBB3_76:                               ;   in Loop: Header=BB3_12 Depth=3
	s_or_b32 exec_lo, exec_lo, s94
	s_waitcnt vmcnt(0)
	v_add_f64 v[61:62], v[41:42], v[43:44]
	v_add_f64 v[63:64], v[49:50], v[27:28]
	v_add_f64 v[65:66], v[29:30], v[47:48]
	v_add_f64 v[94:95], v[27:28], v[43:44]
	v_add_f64 v[96:97], v[39:40], v[31:32]
	v_add_f64 v[100:101], v[21:22], v[33:34]
	v_cmp_gt_i16_e64 s2, 4, v89
	v_add_f64 v[61:62], v[61:62], v[45:46]
	v_add_f64 v[63:64], v[63:64], v[39:40]
	;; [unrolled: 1-line block ×17, first 2 shown]
	s_delay_alu instid0(VALU_DEP_4) | instskip(SKIP_1) | instid1(VALU_DEP_3)
	v_add_f64 v[67:68], v[63:64], v[65:66]
	v_add_f64 v[63:64], v[65:66], -v[63:64]
	v_add_f64 v[61:62], v[61:62], v[51:52]
	s_delay_alu instid0(VALU_DEP_1) | instskip(NEXT) | instid1(VALU_DEP_1)
	v_add_f64 v[61:62], v[61:62], v[55:56]
	v_add_f64 v[61:62], v[61:62], v[23:24]
	s_delay_alu instid0(VALU_DEP_1) | instskip(NEXT) | instid1(VALU_DEP_1)
	v_add_f64 v[61:62], v[67:68], v[61:62]
	v_div_scale_f64 v[67:68], null, v[61:62], v[61:62], 1.0
	v_div_scale_f64 v[98:99], vcc_lo, 1.0, v[61:62], 1.0
	s_delay_alu instid0(VALU_DEP_2) | instskip(SKIP_2) | instid1(VALU_DEP_1)
	v_rcp_f64_e32 v[90:91], v[67:68]
	s_waitcnt_depctr 0xfff
	v_fma_f64 v[92:93], -v[67:68], v[90:91], 1.0
	v_fma_f64 v[90:91], v[90:91], v[92:93], v[90:91]
	s_delay_alu instid0(VALU_DEP_1) | instskip(NEXT) | instid1(VALU_DEP_1)
	v_fma_f64 v[92:93], -v[67:68], v[90:91], 1.0
	v_fma_f64 v[90:91], v[90:91], v[92:93], v[90:91]
	v_add_f64 v[92:93], v[37:38], v[45:46]
	s_delay_alu instid0(VALU_DEP_2) | instskip(NEXT) | instid1(VALU_DEP_2)
	v_mul_f64 v[102:103], v[98:99], v[90:91]
	v_add_f64 v[92:93], v[92:93], v[19:20]
	s_delay_alu instid0(VALU_DEP_2) | instskip(NEXT) | instid1(VALU_DEP_2)
	v_fma_f64 v[67:68], -v[67:68], v[102:103], v[98:99]
	v_add_f64 v[92:93], v[25:26], v[92:93]
	v_add_f64 v[98:99], v[53:54], v[100:101]
	s_delay_alu instid0(VALU_DEP_3) | instskip(NEXT) | instid1(VALU_DEP_3)
	v_div_fmas_f64 v[67:68], v[67:68], v[90:91], v[102:103]
	v_add_f64 v[90:91], v[92:93], v[23:24]
	s_delay_alu instid0(VALU_DEP_3) | instskip(NEXT) | instid1(VALU_DEP_3)
	v_add_f64 v[92:93], v[55:56], v[98:99]
	v_div_fixup_f64 v[65:66], v[67:68], v[61:62], 1.0
	v_add_f64 v[67:68], v[96:97], -v[94:95]
	s_delay_alu instid0(VALU_DEP_3) | instskip(NEXT) | instid1(VALU_DEP_3)
	v_add_f64 v[90:91], v[92:93], -v[90:91]
	v_mul_f64 v[63:64], v[63:64], v[65:66]
	s_delay_alu instid0(VALU_DEP_3) | instskip(NEXT) | instid1(VALU_DEP_3)
	v_mul_f64 v[67:68], v[67:68], v[65:66]
	v_mul_f64 v[65:66], v[90:91], v[65:66]
	s_delay_alu instid0(VALU_DEP_3) | instskip(NEXT) | instid1(VALU_DEP_3)
	v_cvt_f32_f64_e32 v18, v[63:64]
	v_cvt_f32_f64_e32 v63, v[67:68]
	s_delay_alu instid0(VALU_DEP_3)
	v_cvt_f32_f64_e32 v64, v[65:66]
	s_and_saveexec_b32 s3, s2
	s_cbranch_execz .LBB3_78
; %bb.77:                               ;   in Loop: Header=BB3_12 Depth=3
	v_div_scale_f64 v[65:66], null, 0x40420000, 0x40420000, v[61:62]
	v_div_scale_f64 v[91:92], vcc_lo, v[61:62], 0x40420000, v[61:62]
	s_delay_alu instid0(VALU_DEP_4) | instskip(SKIP_4) | instid1(VALU_DEP_4)
	v_sub_f32_e64 v93, -v18, v63
	v_sub_f32_e32 v94, v63, v18
	v_sub_f32_e64 v95, -v18, v64
	v_sub_f32_e32 v96, v64, v18
	v_sub_f32_e64 v97, -v63, v64
	v_dual_mul_f32 v93, 0x40400000, v93 :: v_dual_mul_f32 v98, 0x40400000, v94
	v_sub_f32_e32 v103, v64, v63
	s_delay_alu instid0(VALU_DEP_4) | instskip(NEXT) | instid1(VALU_DEP_4)
	v_dual_mul_f32 v99, 0x40400000, v95 :: v_dual_mul_f32 v100, 0x40400000, v96
	v_mul_f32_e32 v101, 0x40400000, v97
	v_dual_mul_f32 v105, 0xc0400000, v18 :: v_dual_mul_f32 v106, 0xc0400000, v63
	s_delay_alu instid0(VALU_DEP_4) | instskip(SKIP_2) | instid1(VALU_DEP_4)
	v_mul_f32_e32 v103, 0x40400000, v103
	v_cvt_f64_f32_e32 v[93:94], v93
	v_cvt_f64_f32_e32 v[95:96], v98
	v_mul_f32_e32 v110, v105, v105
	v_cvt_f64_f32_e32 v[97:98], v99
	v_cvt_f64_f32_e32 v[99:100], v100
	;; [unrolled: 1-line block ×3, first 2 shown]
	v_mul_f32_e32 v109, 0xc0400000, v64
	v_fma_f32 v107, 0xc0400000, v63, 1.0
	v_fma_f32 v108, 0xc0400000, v64, 1.0
	v_mul_f32_e32 v111, v106, v106
	v_mul_f32_e32 v135, v63, v63
	;; [unrolled: 1-line block ×3, first 2 shown]
	v_cvt_f64_f32_e32 v[105:106], v107
	v_cvt_f64_f32_e32 v[107:108], v108
	;; [unrolled: 1-line block ×4, first 2 shown]
	v_fmac_f32_e32 v135, v18, v18
	v_rcp_f64_e32 v[67:68], v[65:66]
	s_delay_alu instid0(VALU_DEP_1) | instskip(NEXT) | instid1(VALU_DEP_1)
	v_fmac_f32_e32 v135, v64, v64
	v_mul_f32_e32 v135, 0x40400000, v135
	s_delay_alu instid0(VALU_DEP_1)
	v_cvt_f64_f32_e32 v[135:136], v135
	v_add_f64 v[113:114], v[93:94], 1.0
	v_mul_f64 v[115:116], v[93:94], v[93:94]
	v_add_f64 v[117:118], v[95:96], 1.0
	v_mul_f64 v[119:120], v[95:96], v[95:96]
	;; [unrolled: 2-line block ×5, first 2 shown]
	s_delay_alu instid0(TRANS32_DEP_1) | instskip(NEXT) | instid1(VALU_DEP_1)
	v_fma_f64 v[89:90], -v[65:66], v[67:68], 1.0
	v_fma_f64 v[67:68], v[67:68], v[89:90], v[67:68]
	s_delay_alu instid0(VALU_DEP_1) | instskip(NEXT) | instid1(VALU_DEP_1)
	v_fma_f64 v[89:90], -v[65:66], v[67:68], 1.0
	v_fma_f64 v[67:68], v[67:68], v[89:90], v[67:68]
	s_delay_alu instid0(VALU_DEP_1) | instskip(NEXT) | instid1(VALU_DEP_1)
	v_mul_f64 v[89:90], v[91:92], v[67:68]
	v_fma_f64 v[65:66], -v[65:66], v[89:90], v[91:92]
	v_cvt_f64_f32_e32 v[91:92], v103
	v_fma_f32 v103, 0xc0400000, v18, 1.0
	s_delay_alu instid0(VALU_DEP_1) | instskip(NEXT) | instid1(VALU_DEP_4)
	v_cvt_f64_f32_e32 v[103:104], v103
	v_div_fmas_f64 v[65:66], v[65:66], v[67:68], v[89:90]
	v_cvt_f64_f32_e32 v[67:68], v133
	v_add_f64 v[89:90], v[91:92], 1.0
	v_mul_f64 v[133:134], v[91:92], v[91:92]
	v_fma_f64 v[103:104], v[109:110], 0.5, v[103:104]
	v_fma_f64 v[109:110], v[115:116], 0.5, v[113:114]
	;; [unrolled: 1-line block ×6, first 2 shown]
	v_cvt_f64_f32_e32 v[121:122], v18
	v_cvt_f64_f32_e32 v[123:124], v63
	;; [unrolled: 1-line block ×3, first 2 shown]
	v_div_fixup_f64 v[61:62], v[65:66], 0x40420000, v[61:62]
	v_fma_f64 v[65:66], v[111:112], 0.5, v[105:106]
	v_fma_f64 v[67:68], v[67:68], 0.5, v[107:108]
	;; [unrolled: 1-line block ×3, first 2 shown]
	v_fma_f64 v[103:104], v[135:136], -0.5, v[103:104]
	v_fma_f64 v[105:106], v[135:136], -0.5, v[109:110]
	;; [unrolled: 1-line block ×6, first 2 shown]
	v_fma_f64 v[117:118], v[135:136], -0.5, 1.0
	v_add_f64 v[115:116], v[61:62], v[61:62]
	v_fma_f64 v[65:66], v[135:136], -0.5, v[65:66]
	v_fma_f64 v[67:68], v[135:136], -0.5, v[67:68]
	v_fma_f64 v[89:90], v[135:136], -0.5, v[89:90]
	v_mul_f64 v[119:120], 0x40280000, v[61:62]
	v_mul_f64 v[105:106], v[61:62], v[105:106]
	;; [unrolled: 1-line block ×11, first 2 shown]
	v_fma_f64 v[93:94], -v[115:116], v[93:94], v[105:106]
	v_fma_f64 v[95:96], -v[115:116], v[95:96], v[107:108]
	;; [unrolled: 1-line block ×5, first 2 shown]
	v_mul_f64 v[105:106], v[105:106], s[18:19]
	v_mul_f64 v[107:108], v[107:108], s[18:19]
	;; [unrolled: 1-line block ×5, first 2 shown]
	v_fma_f64 v[117:118], v[119:120], v[121:122], v[103:104]
	v_fma_f64 v[121:122], v[119:120], v[123:124], v[65:66]
	;; [unrolled: 1-line block ×3, first 2 shown]
	v_fma_f64 v[91:92], -v[115:116], v[91:92], v[61:62]
	v_mul_f64 v[61:62], v[61:62], s[18:19]
	v_mul_f64 v[89:90], v[89:90], s[18:19]
	;; [unrolled: 1-line block ×10, first 2 shown]
	v_fma_f64 v[27:28], v[1:2], v[27:28], v[105:106]
	v_fma_f64 v[39:40], v[1:2], v[39:40], v[107:108]
	;; [unrolled: 1-line block ×5, first 2 shown]
	v_mul_f64 v[115:116], v[117:118], s[18:19]
	v_mul_f64 v[117:118], v[121:122], s[18:19]
	;; [unrolled: 1-line block ×4, first 2 shown]
	v_fma_f64 v[33:34], v[1:2], v[33:34], v[61:62]
	v_fma_f64 v[41:42], v[1:2], v[41:42], v[89:90]
	;; [unrolled: 1-line block ×14, first 2 shown]
.LBB3_78:                               ;   in Loop: Header=BB3_12 Depth=3
	s_or_b32 exec_lo, exec_lo, s3
	s_and_b32 s3, s2, s72
	s_delay_alu instid0(SALU_CYCLE_1)
	s_and_saveexec_b32 s2, s3
	s_cbranch_execz .LBB3_10
; %bb.79:                               ;   in Loop: Header=BB3_12 Depth=3
	v_add_co_u32 v61, vcc_lo, s22, v59
	v_add_co_ci_u32_e32 v62, vcc_lo, s23, v60, vcc_lo
	v_add_co_u32 v65, vcc_lo, s20, v59
	v_add_co_ci_u32_e32 v66, vcc_lo, s21, v60, vcc_lo
	;; [unrolled: 2-line block ×3, first 2 shown]
	global_store_b32 v[65:66], v18, off
	global_store_b32 v[61:62], v63, off
	;; [unrolled: 1-line block ×3, first 2 shown]
	s_branch .LBB3_10
.LBB3_80:                               ;   in Loop: Header=BB3_12 Depth=3
	v_cmp_eq_u16_e32 vcc_lo, 3, v18
	s_and_b32 s2, vcc_lo, exec_lo
	s_and_not1_saveexec_b32 s3, s3
	s_cbranch_execz .LBB3_58
.LBB3_81:                               ;   in Loop: Header=BB3_12 Depth=3
	s_mov_b32 s95, s2
	s_mov_b32 s96, exec_lo
	v_cmpx_eq_u16_e32 1, v18
	s_cbranch_execz .LBB3_83
; %bb.82:                               ;   in Loop: Header=BB3_12 Depth=3
	s_waitcnt vmcnt(0)
	v_add_f64 v[49:50], v[4:5], v[49:50]
	s_or_b32 s95, s2, exec_lo
.LBB3_83:                               ;   in Loop: Header=BB3_12 Depth=3
	s_or_b32 exec_lo, exec_lo, s96
	s_delay_alu instid0(SALU_CYCLE_1) | instskip(SKIP_1) | instid1(SALU_CYCLE_1)
	s_and_not1_b32 s2, s2, exec_lo
	s_and_b32 s95, s95, exec_lo
	s_or_b32 s2, s2, s95
	s_or_b32 exec_lo, exec_lo, s3
	s_and_saveexec_b32 s3, s2
	s_cbranch_execnz .LBB3_59
	s_branch .LBB3_60
.LBB3_84:                               ;   in Loop: Header=BB3_12 Depth=3
	s_mov_b32 s2, -1
	s_mov_b32 s96, exec_lo
	v_cmpx_lt_i16_e32 4, v18
; %bb.85:                               ;   in Loop: Header=BB3_12 Depth=3
	v_cmp_eq_u16_e32 vcc_lo, 5, v18
	s_xor_b32 s2, exec_lo, -1
	s_and_b32 s95, vcc_lo, exec_lo
; %bb.86:                               ;   in Loop: Header=BB3_12 Depth=3
	s_or_b32 exec_lo, exec_lo, s96
	s_delay_alu instid0(SALU_CYCLE_1)
	s_and_b32 s2, s2, exec_lo
	s_and_b32 s95, s95, exec_lo
	s_and_not1_saveexec_b32 s3, s3
	s_cbranch_execz .LBB3_62
.LBB3_87:                               ;   in Loop: Header=BB3_12 Depth=3
	v_cmp_eq_u16_e32 vcc_lo, 1, v18
	s_and_not1_b32 s95, s95, exec_lo
	s_and_b32 s96, vcc_lo, exec_lo
	s_delay_alu instid0(SALU_CYCLE_1)
	s_or_b32 s95, s95, s96
	s_or_b32 exec_lo, exec_lo, s3
	s_and_saveexec_b32 s3, s95
	s_cbranch_execz .LBB3_63
.LBB3_88:                               ;   in Loop: Header=BB3_12 Depth=3
	s_waitcnt vmcnt(0)
	v_add_f64 v[37:38], v[6:7], v[37:38]
	v_and_b32_e32 v61, 0xff, v90
	s_mov_b32 s95, s2
	s_mov_b32 s96, exec_lo
	s_delay_alu instid0(VALU_DEP_1)
	v_cmpx_lt_i16_e32 3, v61
	s_xor_b32 s96, exec_lo, s96
; %bb.89:                               ;   in Loop: Header=BB3_12 Depth=3
	v_cmp_eq_u16_e32 vcc_lo, 4, v61
	s_and_not1_b32 s95, s2, exec_lo
                                        ; implicit-def: $vgpr61
	s_and_b32 s97, vcc_lo, exec_lo
	s_delay_alu instid0(SALU_CYCLE_1)
	s_or_b32 s95, s95, s97
; %bb.90:                               ;   in Loop: Header=BB3_12 Depth=3
	s_and_not1_saveexec_b32 s96, s96
; %bb.91:                               ;   in Loop: Header=BB3_12 Depth=3
	v_cmp_eq_u16_e32 vcc_lo, 1, v61
	s_and_not1_b32 s95, s95, exec_lo
	s_and_b32 s97, vcc_lo, exec_lo
	s_delay_alu instid0(SALU_CYCLE_1)
	s_or_b32 s95, s95, s97
; %bb.92:                               ;   in Loop: Header=BB3_12 Depth=3
	s_or_b32 exec_lo, exec_lo, s96
	s_delay_alu instid0(SALU_CYCLE_1) | instskip(SKIP_1) | instid1(SALU_CYCLE_1)
	s_and_not1_b32 s2, s2, exec_lo
	s_and_b32 s95, s95, exec_lo
	s_or_b32 s2, s2, s95
	s_or_b32 exec_lo, exec_lo, s3
	s_and_saveexec_b32 s3, s2
	s_cbranch_execnz .LBB3_64
	s_branch .LBB3_65
.LBB3_93:                               ;   in Loop: Header=BB3_12 Depth=3
	s_mov_b32 s97, -1
	s_mov_b32 s98, 0
	s_mov_b32 s2, exec_lo
                                        ; implicit-def: $vgpr61_vgpr62
                                        ; implicit-def: $vgpr63_vgpr64
                                        ; implicit-def: $vgpr65_vgpr66
	v_cmpx_lt_i16_e32 3, v18
	s_cbranch_execz .LBB3_99
; %bb.94:                               ;   in Loop: Header=BB3_12 Depth=3
	s_mov_b32 s97, 0
	s_mov_b32 s98, exec_lo
	v_cmpx_lt_i16_e32 4, v18
	s_xor_b32 s98, exec_lo, s98
; %bb.95:                               ;   in Loop: Header=BB3_12 Depth=3
	v_cmp_eq_u16_e32 vcc_lo, 5, v18
	s_and_b32 s97, vcc_lo, exec_lo
; %bb.96:                               ;   in Loop: Header=BB3_12 Depth=3
	s_or_saveexec_b32 s98, s98
                                        ; implicit-def: $vgpr65_vgpr66
	s_delay_alu instid0(SALU_CYCLE_1)
	s_xor_b32 exec_lo, exec_lo, s98
; %bb.97:                               ;   in Loop: Header=BB3_12 Depth=3
	v_add_f64 v[65:66], v[51:52], 0
	s_mov_b32 s95, exec_lo
; %bb.98:                               ;   in Loop: Header=BB3_12 Depth=3
	s_or_b32 exec_lo, exec_lo, s98
	v_dual_mov_b32 v62, v56 :: v_dual_mov_b32 v61, v55
	v_dual_mov_b32 v64, v58 :: v_dual_mov_b32 v63, v57
	s_and_b32 s98, s97, exec_lo
	s_and_b32 s95, s95, exec_lo
	s_xor_b32 s97, exec_lo, -1
.LBB3_99:                               ;   in Loop: Header=BB3_12 Depth=3
	s_or_b32 exec_lo, exec_lo, s2
	s_delay_alu instid0(SALU_CYCLE_1) | instskip(SKIP_3) | instid1(SALU_CYCLE_1)
	s_and_b32 s2, s98, exec_lo
	s_and_b32 s95, s95, exec_lo
	;; [unrolled: 1-line block ×3, first 2 shown]
	s_or_saveexec_b32 s3, s3
                                        ; implicit-def: $vgpr67_vgpr68
	s_xor_b32 exec_lo, exec_lo, s3
	s_cbranch_execz .LBB3_67
.LBB3_100:                              ;   in Loop: Header=BB3_12 Depth=3
	s_mov_b32 s98, 0
	s_mov_b32 s96, exec_lo
	v_cmpx_lt_i16_e32 1, v18
	s_xor_b32 s96, exec_lo, s96
; %bb.101:                              ;   in Loop: Header=BB3_12 Depth=3
	s_mov_b32 s98, exec_lo
	v_add_f64 v[31:32], v[31:32], 0
; %bb.102:                              ;   in Loop: Header=BB3_12 Depth=3
	s_and_not1_saveexec_b32 s96, s96
	s_cbranch_execz .LBB3_106
; %bb.103:                              ;   in Loop: Header=BB3_12 Depth=3
	s_mov_b32 s99, s98
	s_mov_b32 s100, exec_lo
	v_cmpx_eq_u16_e32 0, v18
; %bb.104:                              ;   in Loop: Header=BB3_12 Depth=3
	v_add_f64 v[29:30], v[8:9], v[29:30]
	s_or_b32 s99, s98, exec_lo
; %bb.105:                              ;   in Loop: Header=BB3_12 Depth=3
	s_or_b32 exec_lo, exec_lo, s100
	s_delay_alu instid0(SALU_CYCLE_1) | instskip(SKIP_1) | instid1(SALU_CYCLE_1)
	s_and_not1_b32 s98, s98, exec_lo
	s_and_b32 s99, s99, exec_lo
	s_or_b32 s98, s98, s99
.LBB3_106:                              ;   in Loop: Header=BB3_12 Depth=3
	s_or_b32 exec_lo, exec_lo, s96
	s_mov_b32 s99, 0
	s_mov_b32 s100, s97
                                        ; implicit-def: $vgpr67_vgpr68
	s_and_saveexec_b32 s96, s98
	s_cbranch_execz .LBB3_112
; %bb.107:                              ;   in Loop: Header=BB3_12 Depth=3
	v_add_f64 v[47:48], v[12:13], v[47:48]
	v_and_b32_e32 v61, 0xff, v90
	s_mov_b32 s98, 0
	s_mov_b32 s99, exec_lo
	s_delay_alu instid0(VALU_DEP_1)
	v_cmpx_lt_i16_e32 1, v61
	s_xor_b32 s99, exec_lo, s99
; %bb.108:                              ;   in Loop: Header=BB3_12 Depth=3
	v_cmp_eq_u16_e32 vcc_lo, 2, v61
                                        ; implicit-def: $vgpr61
	s_and_b32 s98, vcc_lo, exec_lo
; %bb.109:                              ;   in Loop: Header=BB3_12 Depth=3
	s_or_saveexec_b32 s100, s99
	s_mov_b32 s99, s97
	s_xor_b32 exec_lo, exec_lo, s100
; %bb.110:                              ;   in Loop: Header=BB3_12 Depth=3
	v_cmp_eq_u16_e32 vcc_lo, 0, v61
	s_and_not1_b32 s99, s97, exec_lo
	s_and_b32 s101, vcc_lo, exec_lo
	s_delay_alu instid0(SALU_CYCLE_1)
	s_or_b32 s99, s99, s101
; %bb.111:                              ;   in Loop: Header=BB3_12 Depth=3
	s_or_b32 exec_lo, exec_lo, s100
	s_delay_alu instid0(SALU_CYCLE_1)
	s_and_not1_b32 s100, s97, exec_lo
	s_and_b32 s101, s99, exec_lo
	v_dual_mov_b32 v68, v58 :: v_dual_mov_b32 v67, v57
	s_and_b32 s99, s98, exec_lo
	s_or_b32 s100, s100, s101
.LBB3_112:                              ;   in Loop: Header=BB3_12 Depth=3
	s_or_b32 exec_lo, exec_lo, s96
	v_dual_mov_b32 v62, v56 :: v_dual_mov_b32 v61, v55
	v_dual_mov_b32 v64, v58 :: v_dual_mov_b32 v63, v57
	s_and_not1_b32 s97, s97, exec_lo
	s_and_b32 s98, s100, exec_lo
	s_and_b32 s96, s99, exec_lo
	s_or_b32 s97, s97, s98
                                        ; implicit-def: $vgpr65_vgpr66
	s_or_b32 exec_lo, exec_lo, s3
	s_and_saveexec_b32 s3, s97
	s_cbranch_execnz .LBB3_68
	s_branch .LBB3_69
.LBB3_113:                              ;   in Loop: Header=BB3_12 Depth=3
	v_add_f64 v[14:15], v[12:13], v[53:54]
	s_mov_b32 s95, -1
	s_mov_b32 s97, s96
	s_mov_b32 s99, exec_lo
	v_cmpx_lt_i16_e32 3, v18
; %bb.114:                              ;   in Loop: Header=BB3_12 Depth=3
	v_cmp_eq_u16_e32 vcc_lo, 4, v18
	s_and_not1_b32 s97, s96, exec_lo
	s_xor_b32 s95, exec_lo, -1
	s_and_b32 s100, vcc_lo, exec_lo
	s_delay_alu instid0(SALU_CYCLE_1)
	s_or_b32 s97, s97, s100
; %bb.115:                              ;   in Loop: Header=BB3_12 Depth=3
	s_or_b32 exec_lo, exec_lo, s99
	s_delay_alu instid0(SALU_CYCLE_1)
	s_and_not1_b32 s96, s96, exec_lo
	v_dual_mov_b32 v71, v18 :: v_dual_mov_b32 v62, v56
	s_and_b32 s99, s97, exec_lo
	v_dual_mov_b32 v61, v55 :: v_dual_mov_b32 v64, v58
	v_dual_mov_b32 v51, v65 :: v_dual_mov_b32 v68, v58
	;; [unrolled: 1-line block ×4, first 2 shown]
	v_mov_b32_e32 v67, v57
	s_and_b32 s97, s95, exec_lo
	s_or_b32 s96, s96, s99
	s_or_b32 exec_lo, exec_lo, s98
	s_and_saveexec_b32 s95, s96
	s_cbranch_execz .LBB3_71
.LBB3_116:                              ;   in Loop: Header=BB3_12 Depth=3
	v_cmp_eq_u16_e32 vcc_lo, 2, v18
	v_add_f64 v[61:62], v[55:56], 0
	v_dual_mov_b32 v63, v67 :: v_dual_mov_b32 v64, v68
	s_and_b32 s3, vcc_lo, exec_lo
	s_or_b32 exec_lo, exec_lo, s95
	s_and_saveexec_b32 s95, s97
	s_cbranch_execz .LBB3_72
.LBB3_117:                              ;   in Loop: Header=BB3_12 Depth=3
	v_cmp_eq_u16_e32 vcc_lo, 0, v71
	v_dual_mov_b32 v62, v56 :: v_dual_mov_b32 v61, v55
	v_dual_mov_b32 v54, v15 :: v_dual_mov_b32 v53, v14
	;; [unrolled: 1-line block ×4, first 2 shown]
	s_and_not1_b32 s2, s2, exec_lo
	s_and_b32 s96, vcc_lo, exec_lo
                                        ; implicit-def: $vgpr67_vgpr68
	s_delay_alu instid0(SALU_CYCLE_1)
	s_or_b32 s2, s2, s96
	s_or_b32 exec_lo, exec_lo, s95
	s_and_saveexec_b32 s95, s2
	s_cbranch_execz .LBB3_73
.LBB3_118:                              ;   in Loop: Header=BB3_12 Depth=3
	v_add_f64 v[25:26], v[10:11], v[25:26]
	v_cmp_eq_u16_e32 vcc_lo, 5, v18
	v_dual_mov_b32 v62, v56 :: v_dual_mov_b32 v61, v55
	v_dual_mov_b32 v68, v64 :: v_dual_mov_b32 v67, v63
	s_and_not1_b32 s2, s3, exec_lo
	s_and_b32 s3, vcc_lo, exec_lo
	s_delay_alu instid0(SALU_CYCLE_1)
	s_or_b32 s3, s2, s3
	s_or_b32 exec_lo, exec_lo, s95
	s_and_saveexec_b32 s2, s3
	s_cbranch_execnz .LBB3_74
	s_branch .LBB3_75
.LBB3_119:
	s_nop 0
	s_sendmsg sendmsg(MSG_DEALLOC_VGPRS)
	s_endpgm
	.section	.rodata,"a",@progbits
	.p2align	6, 0x0
	.amdhsa_kernel _Z20collide_and_stream_gIL12lattice_type19EEv8lbm_vars5BoxCUddbi
		.amdhsa_group_segment_fixed_size 0
		.amdhsa_private_segment_fixed_size 0
		.amdhsa_kernarg_size 424
		.amdhsa_user_sgpr_count 13
		.amdhsa_user_sgpr_dispatch_ptr 0
		.amdhsa_user_sgpr_queue_ptr 0
		.amdhsa_user_sgpr_kernarg_segment_ptr 1
		.amdhsa_user_sgpr_dispatch_id 0
		.amdhsa_user_sgpr_private_segment_size 0
		.amdhsa_wavefront_size32 1
		.amdhsa_uses_dynamic_stack 0
		.amdhsa_enable_private_segment 0
		.amdhsa_system_sgpr_workgroup_id_x 1
		.amdhsa_system_sgpr_workgroup_id_y 1
		.amdhsa_system_sgpr_workgroup_id_z 1
		.amdhsa_system_sgpr_workgroup_info 0
		.amdhsa_system_vgpr_workitem_id 1
		.amdhsa_next_free_vgpr 137
		.amdhsa_next_free_sgpr 102
		.amdhsa_reserve_vcc 1
		.amdhsa_float_round_mode_32 0
		.amdhsa_float_round_mode_16_64 0
		.amdhsa_float_denorm_mode_32 3
		.amdhsa_float_denorm_mode_16_64 3
		.amdhsa_dx10_clamp 1
		.amdhsa_ieee_mode 1
		.amdhsa_fp16_overflow 0
		.amdhsa_workgroup_processor_mode 1
		.amdhsa_memory_ordered 1
		.amdhsa_forward_progress 0
		.amdhsa_shared_vgpr_count 0
		.amdhsa_exception_fp_ieee_invalid_op 0
		.amdhsa_exception_fp_denorm_src 0
		.amdhsa_exception_fp_ieee_div_zero 0
		.amdhsa_exception_fp_ieee_overflow 0
		.amdhsa_exception_fp_ieee_underflow 0
		.amdhsa_exception_fp_ieee_inexact 0
		.amdhsa_exception_int_div_zero 0
	.end_amdhsa_kernel
	.section	.text._Z20collide_and_stream_gIL12lattice_type19EEv8lbm_vars5BoxCUddbi,"axG",@progbits,_Z20collide_and_stream_gIL12lattice_type19EEv8lbm_vars5BoxCUddbi,comdat
.Lfunc_end3:
	.size	_Z20collide_and_stream_gIL12lattice_type19EEv8lbm_vars5BoxCUddbi, .Lfunc_end3-_Z20collide_and_stream_gIL12lattice_type19EEv8lbm_vars5BoxCUddbi
                                        ; -- End function
	.section	.AMDGPU.csdata,"",@progbits
; Kernel info:
; codeLenInByte = 7468
; NumSgprs: 104
; NumVgprs: 137
; ScratchSize: 0
; MemoryBound: 0
; FloatMode: 240
; IeeeMode: 1
; LDSByteSize: 0 bytes/workgroup (compile time only)
; SGPRBlocks: 12
; VGPRBlocks: 17
; NumSGPRsForWavesPerEU: 104
; NumVGPRsForWavesPerEU: 137
; Occupancy: 10
; WaveLimiterHint : 1
; COMPUTE_PGM_RSRC2:SCRATCH_EN: 0
; COMPUTE_PGM_RSRC2:USER_SGPR: 13
; COMPUTE_PGM_RSRC2:TRAP_HANDLER: 0
; COMPUTE_PGM_RSRC2:TGID_X_EN: 1
; COMPUTE_PGM_RSRC2:TGID_Y_EN: 1
; COMPUTE_PGM_RSRC2:TGID_Z_EN: 1
; COMPUTE_PGM_RSRC2:TIDIG_COMP_CNT: 1
	.text
	.p2alignl 7, 3214868480
	.fill 96, 4, 3214868480
	.protected	C_dirs                  ; @C_dirs
	.type	C_dirs,@object
	.section	.rodata,"a",@progbits
	.globl	C_dirs
	.p2align	4, 0x0
C_dirs:
	.zero	81
	.size	C_dirs, 81

	.type	_ZL3C_p,@object                 ; @_ZL3C_p
	.globl	_ZL3C_p
_ZL3C_p:
	.zero	12
	.size	_ZL3C_p, 12

	.type	__hip_cuid_d0f70f84dde4e91c,@object ; @__hip_cuid_d0f70f84dde4e91c
	.section	.bss,"aw",@nobits
	.globl	__hip_cuid_d0f70f84dde4e91c
__hip_cuid_d0f70f84dde4e91c:
	.byte	0                               ; 0x0
	.size	__hip_cuid_d0f70f84dde4e91c, 1

	.ident	"AMD clang version 19.0.0git (https://github.com/RadeonOpenCompute/llvm-project roc-6.4.0 25133 c7fe45cf4b819c5991fe208aaa96edf142730f1d)"
	.section	".note.GNU-stack","",@progbits
	.addrsig
	.addrsig_sym C_dirs
	.addrsig_sym _ZL3C_p
	.addrsig_sym __hip_cuid_d0f70f84dde4e91c
	.amdgpu_metadata
---
amdhsa.kernels:
  - .args:
      - .address_space:  global
        .offset:         0
        .size:           8
        .value_kind:     global_buffer
      - .actual_access:  write_only
        .address_space:  global
        .offset:         8
        .size:           8
        .value_kind:     global_buffer
      - .actual_access:  write_only
        .address_space:  global
        .offset:         16
        .size:           8
        .value_kind:     global_buffer
      - .offset:         24
        .size:           24
        .value_kind:     by_value
      - .offset:         48
        .size:           24
        .value_kind:     by_value
      - .offset:         72
        .size:           4
        .value_kind:     by_value
      - .offset:         76
        .size:           4
        .value_kind:     by_value
      - .offset:         80
        .size:           4
        .value_kind:     by_value
      - .offset:         84
        .size:           4
        .value_kind:     by_value
      - .offset:         88
        .size:           4
        .value_kind:     hidden_block_count_x
      - .offset:         92
        .size:           4
        .value_kind:     hidden_block_count_y
      - .offset:         96
        .size:           4
        .value_kind:     hidden_block_count_z
      - .offset:         100
        .size:           2
        .value_kind:     hidden_group_size_x
      - .offset:         102
        .size:           2
        .value_kind:     hidden_group_size_y
      - .offset:         104
        .size:           2
        .value_kind:     hidden_group_size_z
      - .offset:         106
        .size:           2
        .value_kind:     hidden_remainder_x
      - .offset:         108
        .size:           2
        .value_kind:     hidden_remainder_y
      - .offset:         110
        .size:           2
        .value_kind:     hidden_remainder_z
      - .offset:         128
        .size:           8
        .value_kind:     hidden_global_offset_x
      - .offset:         136
        .size:           8
        .value_kind:     hidden_global_offset_y
      - .offset:         144
        .size:           8
        .value_kind:     hidden_global_offset_z
      - .offset:         152
        .size:           2
        .value_kind:     hidden_grid_dims
    .group_segment_fixed_size: 0
    .kernarg_segment_align: 8
    .kernarg_segment_size: 344
    .language:       OpenCL C
    .language_version:
      - 2
      - 0
    .max_flat_workgroup_size: 1024
    .name:           _Z9make_flagPcPiS_5BoxCU10outer_walliiii
    .private_segment_fixed_size: 0
    .sgpr_count:     90
    .sgpr_spill_count: 0
    .symbol:         _Z9make_flagPcPiS_5BoxCU10outer_walliiii.kd
    .uniform_work_group_size: 1
    .uses_dynamic_stack: false
    .vgpr_count:     24
    .vgpr_spill_count: 0
    .wavefront_size: 32
    .workgroup_processor_mode: 1
  - .args:
      - .address_space:  global
        .offset:         0
        .size:           8
        .value_kind:     global_buffer
      - .address_space:  global
        .offset:         8
        .size:           8
        .value_kind:     global_buffer
      - .address_space:  global
        .offset:         16
        .size:           8
        .value_kind:     global_buffer
      - .offset:         24
        .size:           24
        .value_kind:     by_value
      - .offset:         48
        .size:           4
        .value_kind:     by_value
      - .offset:         56
        .size:           4
        .value_kind:     hidden_block_count_x
      - .offset:         60
        .size:           4
        .value_kind:     hidden_block_count_y
      - .offset:         64
        .size:           4
        .value_kind:     hidden_block_count_z
      - .offset:         68
        .size:           2
        .value_kind:     hidden_group_size_x
      - .offset:         70
        .size:           2
        .value_kind:     hidden_group_size_y
      - .offset:         72
        .size:           2
        .value_kind:     hidden_group_size_z
      - .offset:         74
        .size:           2
        .value_kind:     hidden_remainder_x
      - .offset:         76
        .size:           2
        .value_kind:     hidden_remainder_y
      - .offset:         78
        .size:           2
        .value_kind:     hidden_remainder_z
      - .offset:         96
        .size:           8
        .value_kind:     hidden_global_offset_x
      - .offset:         104
        .size:           8
        .value_kind:     hidden_global_offset_y
      - .offset:         112
        .size:           8
        .value_kind:     hidden_global_offset_z
      - .offset:         120
        .size:           2
        .value_kind:     hidden_grid_dims
    .group_segment_fixed_size: 0
    .kernarg_segment_align: 8
    .kernarg_segment_size: 312
    .language:       OpenCL C
    .language_version:
      - 2
      - 0
    .max_flat_workgroup_size: 1024
    .name:           _Z9find_wallILi19EEvPcS0_Pi5BoxCUi
    .private_segment_fixed_size: 0
    .sgpr_count:     40
    .sgpr_spill_count: 0
    .symbol:         _Z9find_wallILi19EEvPcS0_Pi5BoxCUi.kd
    .uniform_work_group_size: 1
    .uses_dynamic_stack: false
    .vgpr_count:     24
    .vgpr_spill_count: 0
    .wavefront_size: 32
    .workgroup_processor_mode: 1
  - .args:
      - .offset:         0
        .size:           120
        .value_kind:     by_value
      - .offset:         120
        .size:           24
        .value_kind:     by_value
      - .offset:         144
        .size:           24
        .value_kind:     by_value
      - .offset:         168
        .size:           8
        .value_kind:     by_value
      - .offset:         176
        .size:           4
        .value_kind:     by_value
      - .offset:         180
        .size:           4
        .value_kind:     by_value
      - .offset:         184
        .size:           4
        .value_kind:     by_value
      - .offset:         192
        .size:           8
        .value_kind:     by_value
      - .offset:         200
        .size:           4
        .value_kind:     hidden_block_count_x
      - .offset:         204
        .size:           4
        .value_kind:     hidden_block_count_y
      - .offset:         208
        .size:           4
        .value_kind:     hidden_block_count_z
      - .offset:         212
        .size:           2
        .value_kind:     hidden_group_size_x
      - .offset:         214
        .size:           2
        .value_kind:     hidden_group_size_y
      - .offset:         216
        .size:           2
        .value_kind:     hidden_group_size_z
      - .offset:         218
        .size:           2
        .value_kind:     hidden_remainder_x
      - .offset:         220
        .size:           2
        .value_kind:     hidden_remainder_y
      - .offset:         222
        .size:           2
        .value_kind:     hidden_remainder_z
      - .offset:         240
        .size:           8
        .value_kind:     hidden_global_offset_x
      - .offset:         248
        .size:           8
        .value_kind:     hidden_global_offset_y
      - .offset:         256
        .size:           8
        .value_kind:     hidden_global_offset_z
      - .offset:         264
        .size:           2
        .value_kind:     hidden_grid_dims
    .group_segment_fixed_size: 0
    .kernarg_segment_align: 8
    .kernarg_segment_size: 456
    .language:       OpenCL C
    .language_version:
      - 2
      - 0
    .max_flat_workgroup_size: 1024
    .name:           _Z15init_velocity_gIL12lattice_type19EEv8lbm_vars5BoxCUS2_dfffd
    .private_segment_fixed_size: 0
    .sgpr_count:     70
    .sgpr_spill_count: 0
    .symbol:         _Z15init_velocity_gIL12lattice_type19EEv8lbm_vars5BoxCUS2_dfffd.kd
    .uniform_work_group_size: 1
    .uses_dynamic_stack: false
    .vgpr_count:     146
    .vgpr_spill_count: 0
    .wavefront_size: 32
    .workgroup_processor_mode: 1
  - .args:
      - .offset:         0
        .size:           120
        .value_kind:     by_value
      - .offset:         120
        .size:           24
        .value_kind:     by_value
      - .offset:         144
        .size:           8
        .value_kind:     by_value
      - .offset:         152
        .size:           8
        .value_kind:     by_value
      - .offset:         160
        .size:           1
        .value_kind:     by_value
      - .offset:         164
        .size:           4
        .value_kind:     by_value
      - .offset:         168
        .size:           4
        .value_kind:     hidden_block_count_x
      - .offset:         172
        .size:           4
        .value_kind:     hidden_block_count_y
      - .offset:         176
        .size:           4
        .value_kind:     hidden_block_count_z
      - .offset:         180
        .size:           2
        .value_kind:     hidden_group_size_x
      - .offset:         182
        .size:           2
        .value_kind:     hidden_group_size_y
      - .offset:         184
        .size:           2
        .value_kind:     hidden_group_size_z
      - .offset:         186
        .size:           2
        .value_kind:     hidden_remainder_x
      - .offset:         188
        .size:           2
        .value_kind:     hidden_remainder_y
      - .offset:         190
        .size:           2
        .value_kind:     hidden_remainder_z
      - .offset:         208
        .size:           8
        .value_kind:     hidden_global_offset_x
      - .offset:         216
        .size:           8
        .value_kind:     hidden_global_offset_y
      - .offset:         224
        .size:           8
        .value_kind:     hidden_global_offset_z
      - .offset:         232
        .size:           2
        .value_kind:     hidden_grid_dims
    .group_segment_fixed_size: 0
    .kernarg_segment_align: 8
    .kernarg_segment_size: 424
    .language:       OpenCL C
    .language_version:
      - 2
      - 0
    .max_flat_workgroup_size: 64
    .name:           _Z20collide_and_stream_gIL12lattice_type19EEv8lbm_vars5BoxCUddbi
    .private_segment_fixed_size: 0
    .sgpr_count:     104
    .sgpr_spill_count: 0
    .symbol:         _Z20collide_and_stream_gIL12lattice_type19EEv8lbm_vars5BoxCUddbi.kd
    .uniform_work_group_size: 1
    .uses_dynamic_stack: false
    .vgpr_count:     137
    .vgpr_spill_count: 0
    .wavefront_size: 32
    .workgroup_processor_mode: 1
amdhsa.target:   amdgcn-amd-amdhsa--gfx1100
amdhsa.version:
  - 1
  - 2
...

	.end_amdgpu_metadata
